;; amdgpu-corpus repo=ROCm/aiter kind=harvested arch=n/a opt=n/a

/root/src/amdgpu-assembly/repos/ROCm__aiter/hsa/gfx942/fmoe_2stages/fmoe_stage1_bf16_pertokenFp8_blockscale_g1u1_32x128_3tg_pf2.co:	file format elf64-amdgpu

Disassembly of section .text:

0000000000002a00 <_ZN5aiter59fmoe_stage1_bf16_pertokenFp8_blockscale_g1u1_32x128_3tg_pf2E>:
	s_and_b32 s1, s1, 0xffff                                   // 000000002A00: 8601FF01 0000FFFF
	s_load_dwordx2 s[8:9], s[0:1], 0x0                         // 000000002A08: C0060200 00000000
	s_load_dwordx2 s[20:21], s[0:1], 0x10                      // 000000002A10: C0060500 00000010
	s_load_dwordx2 s[24:25], s[0:1], 0x20                      // 000000002A18: C0060600 00000020
	s_load_dwordx2 s[48:49], s[0:1], 0x30                      // 000000002A20: C0060C00 00000030
	s_load_dwordx2 s[28:29], s[0:1], 0x40                      // 000000002A28: C0060700 00000040
	s_load_dwordx2 s[32:33], s[0:1], 0x50                      // 000000002A30: C0060800 00000050
	s_load_dwordx2 s[36:37], s[0:1], 0x60                      // 000000002A38: C0060900 00000060
	s_load_dwordx2 s[12:13], s[0:1], 0x70                      // 000000002A40: C0060300 00000070
	s_load_dwordx2 s[44:45], s[0:1], 0x80                      // 000000002A48: C0060B00 00000080
	s_mov_b32 s89, 0                                           // 000000002A50: BED90080
	s_load_dword s64, s[0:1], 0x90                             // 000000002A54: C0021000 00000090
	s_load_dword s65, s[0:1], 0xa0                             // 000000002A5C: C0021040 000000A0
	s_load_dword s66, s[0:1], 0xb0                             // 000000002A64: C0021080 000000B0
	s_load_dword s67, s[0:1], 0xc0                             // 000000002A6C: C00210C0 000000C0
	s_load_dword s68, s[0:1], 0xd0                             // 000000002A74: C0021100 000000D0
	s_load_dword s69, s[0:1], 0xe0                             // 000000002A7C: C0021140 000000E0
	s_load_dword s71, s[0:1], 0xf0                             // 000000002A84: C00211C0 000000F0
	s_load_dword s72, s[0:1], 0x100                            // 000000002A8C: C0021200 00000100
	s_load_dword s74, s[0:1], 0x110                            // 000000002A94: C0021280 00000110
	s_load_dword s76, s[0:1], 0x120                            // 000000002A9C: C0021300 00000120
	s_load_dword s56, s[0:1], 0x130                            // 000000002AA4: C0020E00 00000130
	s_load_dword s88, s[0:1], 0x140                            // 000000002AAC: C0021600 00000140
	s_load_dword s89, s[0:1], 0x150                            // 000000002AB4: C0021640 00000150
	v_lshrrev_b32_e32 v1, 10, v0                               // 000000002ABC: 2002008A
	v_lshrrev_b32_e32 v2, 10, v1                               // 000000002AC0: 2004028A
	v_and_b32_e32 v2, 0x3ff, v2                                // 000000002AC4: 260404FF 000003FF
	v_and_b32_e32 v1, 0x3ff, v1                                // 000000002ACC: 260202FF 000003FF
	v_and_b32_e32 v0, 0x3ff, v0                                // 000000002AD4: 260000FF 000003FF
	v_lshrrev_b32_e32 v3, 6, v0                                // 000000002ADC: 20060086
	v_and_b32_e32 v0, 63, v0                                   // 000000002AE0: 260000BF
	s_mov_b32 s2, s2                                           // 000000002AE4: BE820002
	s_mov_b32 s3, s3                                           // 000000002AE8: BE830003
	s_mov_b32 s4, s4                                           // 000000002AEC: BE840004
	v_readfirstlane_b32 s7, v3                                 // 000000002AF0: 7E0E0503
	s_waitcnt lgkmcnt(0)                                       // 000000002AF4: BF8CC07F
	s_and_b32 s49, s49, 0xffff                                 // 000000002AF8: 8631FF31 0000FFFF
	s_load_dword s48, s[48:49], 0x0                            // 000000002B00: C0020C18 00000000
	s_and_b32 s45, s45, 0xffff                                 // 000000002B08: 862DFF2D 0000FFFF
	s_and_b32 s9, s9, 0xffff                                   // 000000002B10: 8609FF09 0000FFFF
	s_mul_i32 s60, s66, s68                                    // 000000002B18: 923C4442
	s_mul_i32 s61, s66, 4                                      // 000000002B1C: 923D8442
	s_mov_b32 s22, s60                                         // 000000002B20: BE96003C
	s_mov_b32 s26, -16                                         // 000000002B24: BE9A00D0
	s_mov_b32 s30, s61                                         // 000000002B28: BE9E003D
	s_mov_b32 s14, 0x80                                        // 000000002B2C: BE8E00FF 00000080
	s_mov_b32 s38, -16                                         // 000000002B34: BEA600D0
	s_mov_b32 s10, -16                                         // 000000002B38: BE8A00D0
	s_lshr_b32 s60, s64, 7                                     // 000000002B3C: 8F3C8740
	s_mul_i32 s61, s60, 4                                      // 000000002B40: 923D843C
	s_lshr_b32 s60, s65, 7                                     // 000000002B44: 8F3C8741
	s_add_u32 s60, s60, 1                                      // 000000002B48: 803C813C
	s_mul_i32 s60, s60, s61                                    // 000000002B4C: 923C3D3C
	s_mov_b32 s34, s60                                         // 000000002B50: BEA2003C
	s_mov_b32 s23, 0x20000                                     // 000000002B54: BE9700FF 00020000
	s_mov_b32 s27, 0x20000                                     // 000000002B5C: BE9B00FF 00020000
	s_mov_b32 s31, 0x20000                                     // 000000002B64: BE9F00FF 00020000
	s_mov_b32 s35, 0x20000                                     // 000000002B6C: BEA300FF 00020000
	s_mov_b32 s15, 0x20000                                     // 000000002B74: BE8F00FF 00020000
	s_mov_b32 s39, 0x20000                                     // 000000002B7C: BEA700FF 00020000
	s_mov_b32 s11, 0x20000                                     // 000000002B84: BE8B00FF 00020000
	s_and_b32 s21, s21, 0xffff                                 // 000000002B8C: 8615FF15 0000FFFF
	s_and_b32 s25, s25, 0xffff                                 // 000000002B94: 8619FF19 0000FFFF
	s_and_b32 s29, s29, 0xffff                                 // 000000002B9C: 861DFF1D 0000FFFF
	s_and_b32 s33, s33, 0xffff                                 // 000000002BA4: 8621FF21 0000FFFF
	s_and_b32 s13, s13, 0xffff                                 // 000000002BAC: 860DFF0D 0000FFFF
	s_and_b32 s37, s37, 0xffff                                 // 000000002BB4: 8625FF25 0000FFFF
	s_or_b32 s21, s21, 0x40000                                 // 000000002BBC: 8715FF15 00040000
	s_or_b32 s25, s25, 0x40000                                 // 000000002BC4: 8719FF19 00040000
	s_or_b32 s29, s29, 0x40000                                 // 000000002BCC: 871DFF1D 00040000
	s_or_b32 s33, s33, 0x40000                                 // 000000002BD4: 8721FF21 00040000
	s_or_b32 s13, s13, 0x40000                                 // 000000002BDC: 870DFF0D 00040000
	s_or_b32 s37, s37, 0x40000                                 // 000000002BE4: 8725FF25 00040000
	v_accvgpr_write_b32 a63, 0                                 // 000000002BEC: D3D9403F 18000080
	v_mov_b32_e32 v75, 0                                       // 000000002BF4: 7E960280
	s_waitcnt lgkmcnt(0)                                       // 000000002BF8: BF8CC07F
	s_mul_i32 s60, s3, 32                                      // 000000002BFC: 923CA003
	s_cmp_lt_i32 s60, s48                                      // 000000002C00: BF04303C
	s_cbranch_scc0 label_0F5A                                  // 000000002C04: BF840ED5
	s_mov_b32 s80, 0                                           // 000000002C08: BED00080
	s_lshr_b32 s81, s64, s88                                   // 000000002C0C: 8F515840
	s_mul_i32 s60, s3, 4                                       // 000000002C10: 923C8403
	s_add_u32 s44, s60, s44                                    // 000000002C14: 802C2C3C
	s_addc_u32 s45, 0, s45                                     // 000000002C18: 822D2D80
	s_load_dword s5, s[44:45], 0x0                             // 000000002C1C: C0020156 00000000
	s_mul_i32 s60, s3, 32                                      // 000000002C24: 923CA003
	s_mul_i32 s60, 4, s60                                      // 000000002C28: 923C3C84
	s_add_u32 s12, s60, s12                                    // 000000002C2C: 800C0C3C
	s_addc_u32 s13, 0, s13                                     // 000000002C30: 820D0D80
	v_and_b32_e32 v4, 15, v0                                   // 000000002C34: 2608008F
	v_lshlrev_b32_e32 v4, 2, v4                                // 000000002C38: 24080882
	buffer_load_dword v28, v4, s[12:15], 0 offen               // 000000002C3C: E0501000 80031C04
	v_add_u32_e32 v4, 64, v4                                   // 000000002C44: 680808C0
	buffer_load_dword v29, v4, s[12:15], 0 offen               // 000000002C48: E0501000 80031D04
	v_add_u32_e32 v4, 64, v4                                   // 000000002C50: 680808C0
	s_mul_i32 s60, 4, s7                                       // 000000002C54: 923C0784
	v_lshlrev_b32_e32 v4, 4, v0                                // 000000002C58: 24080084
	v_add_u32_e32 v4, s60, v4                                  // 000000002C5C: 6808083C
	buffer_load_dword v3, v4, s[12:15], 0 offen                // 000000002C60: E0501000 80030304
	v_mov_b32_e32 v44, 0                                       // 000000002C68: 7E580280
	v_mov_b32_e32 v60, 0                                       // 000000002C6C: 7E780280
	v_mov_b32_e32 v45, 0                                       // 000000002C70: 7E5A0280
	v_mov_b32_e32 v61, 0                                       // 000000002C74: 7E7A0280
	v_mov_b32_e32 v46, 0                                       // 000000002C78: 7E5C0280
	v_mov_b32_e32 v62, 0                                       // 000000002C7C: 7E7C0280
	v_mov_b32_e32 v47, 0                                       // 000000002C80: 7E5E0280
	v_mov_b32_e32 v63, 0                                       // 000000002C84: 7E7E0280
	v_mov_b32_e32 v48, 0                                       // 000000002C88: 7E600280
	v_mov_b32_e32 v64, 0                                       // 000000002C8C: 7E800280
	v_mov_b32_e32 v49, 0                                       // 000000002C90: 7E620280
	v_mov_b32_e32 v65, 0                                       // 000000002C94: 7E820280
	v_mov_b32_e32 v50, 0                                       // 000000002C98: 7E640280
	v_mov_b32_e32 v66, 0                                       // 000000002C9C: 7E840280
	v_mov_b32_e32 v51, 0                                       // 000000002CA0: 7E660280
	v_mov_b32_e32 v67, 0                                       // 000000002CA4: 7E860280
	v_mov_b32_e32 v52, 0                                       // 000000002CA8: 7E680280
	v_mov_b32_e32 v68, 0                                       // 000000002CAC: 7E880280
	v_mov_b32_e32 v53, 0                                       // 000000002CB0: 7E6A0280
	v_mov_b32_e32 v69, 0                                       // 000000002CB4: 7E8A0280
	v_mov_b32_e32 v54, 0                                       // 000000002CB8: 7E6C0280
	v_mov_b32_e32 v70, 0                                       // 000000002CBC: 7E8C0280
	v_mov_b32_e32 v55, 0                                       // 000000002CC0: 7E6E0280
	v_mov_b32_e32 v71, 0                                       // 000000002CC4: 7E8E0280
	v_mov_b32_e32 v56, 0                                       // 000000002CC8: 7E700280
	v_mov_b32_e32 v72, 0                                       // 000000002CCC: 7E900280
	v_mov_b32_e32 v57, 0                                       // 000000002CD0: 7E720280
	v_mov_b32_e32 v73, 0                                       // 000000002CD4: 7E920280
	v_mov_b32_e32 v58, 0                                       // 000000002CD8: 7E740280
	v_mov_b32_e32 v74, 0                                       // 000000002CDC: 7E940280
	v_mov_b32_e32 v59, 0                                       // 000000002CE0: 7E760280
	v_mov_b32_e32 v75, 0                                       // 000000002CE4: 7E960280
	s_mul_i32 s60, s2, 0x80                                    // 000000002CE8: 923CFF02 00000080
	s_cmp_eq_u32 s88, 0                                        // 000000002CF0: BF068058
	s_cselect_b32 s61, 1, 4                                    // 000000002CF4: 853D8481
	s_mul_i32 s60, s60, s61                                    // 000000002CF8: 923C3D3C
	s_mov_b32 s90, s8                                          // 000000002CFC: BEDA0008
	s_mov_b32 s91, s9                                          // 000000002D00: BEDB0009
	s_add_u32 s8, s60, s8                                      // 000000002D04: 8008083C
	s_addc_u32 s9, 0, s9                                       // 000000002D08: 82090980
	v_lshrrev_b32_e32 v4, 4, v0                                // 000000002D0C: 20080084
	v_mul_lo_u32 v20, 34, v4                                   // 000000002D10: D2850014 000208A2
	v_and_b32_e32 v4, 15, v0                                   // 000000002D18: 2608008F
	v_mul_lo_u32 v5, 2, v4                                     // 000000002D1C: D2850005 00020882
	v_add_u32_e32 v20, v5, v20                                 // 000000002D24: 68282905
	s_mul_i32 s60, s7, 0x88                                    // 000000002D28: 923CFF07 00000088
	v_add_u32_e32 v20, s60, v20                                // 000000002D30: 6828283C
	v_lshlrev_b32_e32 v20, 2, v20                              // 000000002D34: 24282882
	v_and_b32_e32 v4, 31, v0                                   // 000000002D38: 2608009F
	v_lshrrev_b32_e32 v4, 1, v4                                // 000000002D3C: 20080881
	v_mul_lo_u32 v21, 34, v4                                   // 000000002D40: D2850015 000208A2
	v_lshrrev_b32_e32 v4, 5, v0                                // 000000002D48: 20080085
	v_mul_lo_u32 v4, 8, v4                                     // 000000002D4C: D2850004 00020888
	v_add_u32_e32 v21, v21, v4                                 // 000000002D54: 682A0915
	v_and_b32_e32 v5, 1, v0                                    // 000000002D58: 260A0081
	v_add_u32_e32 v21, v5, v21                                 // 000000002D5C: 682A2B05
	s_mul_i32 s60, s7, 2                                       // 000000002D60: 923C8207
	v_add_u32_e32 v21, s60, v21                                // 000000002D64: 682A2A3C
	v_lshlrev_b32_e32 v21, 2, v21                              // 000000002D68: 242A2A82
	s_mul_i32 s60, s7, 0x420                                   // 000000002D6C: 923CFF07 00000420
	s_add_u32 s48, 0, s60                                      // 000000002D74: 80303C80
	s_add_u32 s49, 0x1080, s48                                 // 000000002D78: 803130FF 00001080
	v_lshrrev_b32_e32 v4, 4, v0                                // 000000002D80: 20080084
	v_lshlrev_b32_e32 v5, 2, v4                                // 000000002D84: 240A0882
	v_and_b32_e32 v4, 15, v0                                   // 000000002D88: 2608008F
	v_lshrrev_b32_e32 v6, 2, v4                                // 000000002D8C: 200C0882
	v_lshlrev_b32_e32 v6, 5, v6                                // 000000002D90: 240C0C85
	v_add_u32_e32 v5, v6, v5                                   // 000000002D94: 680A0B06
	v_and_b32_e32 v4, 3, v0                                    // 000000002D98: 26080083
	v_mul_u32_u24_e32 v6, 0x108, v4                            // 000000002D9C: 100C08FF 00000108
	v_add_u32_e32 v5, v6, v5                                   // 000000002DA4: 680A0B06
	v_lshlrev_b32_e32 v2, 2, v5                                // 000000002DA8: 24040A82
	s_waitcnt lgkmcnt(0)                                       // 000000002DAC: BF8CC07F
	s_mul_i32 s60, s2, 0x80                                    // 000000002DB0: 923CFF02 00000080
	s_mul_i32 s60, s60, s69                                    // 000000002DB8: 923C453C
	s_mul_i32 s61, s5, s72                                     // 000000002DBC: 923D4805
	s_add_u32 s60, s61, s60                                    // 000000002DC0: 803C3C3D
	s_add_u32 s24, s60, s24                                    // 000000002DC4: 8018183C
	s_addc_u32 s25, 0, s25                                     // 000000002DC8: 82191980
	s_lshr_b32 s60, s64, s88                                   // 000000002DCC: 8F3C5840
	s_mul_i32 s60, s4, s60                                     // 000000002DD0: 923C3C04
	s_lshr_b32 s60, s60, 7                                     // 000000002DD4: 8F3C873C
	s_mul_i32 s60, s60, 0x800                                  // 000000002DD8: 923CFF3C 00000800
	s_add_u32 s24, s60, s24                                    // 000000002DE0: 8018183C
	s_addc_u32 s25, 0, s25                                     // 000000002DE4: 82191980
	s_lshr_b32 s60, s69, s88                                   // 000000002DE8: 8F3C5845
	s_mul_i32 s60, s4, s60                                     // 000000002DEC: 923C3C04
	s_add_u32 s20, s60, s20                                    // 000000002DF0: 8014143C
	s_addc_u32 s21, 0, s21                                     // 000000002DF4: 82151580
	s_mul_i32 s60, s7, 16                                      // 000000002DF8: 923C9007
	s_mul_i32 s60, s60, s69                                    // 000000002DFC: 923C453C
	v_lshlrev_b32_e32 v40, 4, v0                               // 000000002E00: 24500084
	v_add_u32_e32 v40, s60, v40                                // 000000002E04: 6850503C
	s_mul_i32 s60, 64, s69                                     // 000000002E08: 923C45C0
	v_add_u32_e32 v41, s60, v40                                // 000000002E0C: 6852503C
	s_mov_b32 s84, s24                                         // 000000002E10: BED40018
	s_mov_b32 s85, s25                                         // 000000002E14: BED50019
	s_mov_b32 s86, s26                                         // 000000002E18: BED6001A
	s_mov_b32 s87, s27                                         // 000000002E1C: BED7001B
	s_mul_i32 s60, s69, s65                                    // 000000002E20: 923C4145
	s_add_u32 s84, s60, s84                                    // 000000002E24: 8054543C
	s_addc_u32 s85, 0, s85                                     // 000000002E28: 82555580
	s_lshr_b32 s60, s64, 7                                     // 000000002E2C: 8F3C8740
	s_mul_i32 s61, s60, 4                                      // 000000002E30: 923D843C
	v_and_b32_e32 v22, 15, v0                                  // 000000002E34: 262C008F
	v_mul_lo_u32 v22, v22, s61                                 // 000000002E38: D2850016 00007B16
	s_lshr_b32 s60, s65, 7                                     // 000000002E40: 8F3C8741
	s_mul_i32 s60, s60, s61                                    // 000000002E44: 923C3D3C
	v_add_u32_e64 v23, v22, s60                                // 000000002E48: D1340017 00007916
	s_mul_i32 s60, s2, 1                                       // 000000002E50: 923C8102
	s_mul_i32 s60, s60, s61                                    // 000000002E54: 923C3D3C
	s_mul_i32 s61, s5, s74                                     // 000000002E58: 923D4A05
	s_add_u32 s61, s61, s60                                    // 000000002E5C: 803D3C3D
	s_add_u32 s32, s61, s32                                    // 000000002E60: 8020203D
	s_addc_u32 s33, 0, s33                                     // 000000002E64: 82212180
	s_lshr_b32 s60, s64, 7                                     // 000000002E68: 8F3C8740
	s_lshr_b32 s60, s60, s88                                   // 000000002E6C: 8F3C583C
	s_mul_i32 s60, s4, s60                                     // 000000002E70: 923C3C04
	s_mul_i32 s61, s60, 4                                      // 000000002E74: 923D843C
	s_add_u32 s32, s61, s32                                    // 000000002E78: 8020203D
	s_addc_u32 s33, 0, s33                                     // 000000002E7C: 82212180
	s_lshl_b32 s62, s66, 2                                     // 000000002E80: 8E3E8242
	s_mul_i32 s62, s60, s62                                    // 000000002E84: 923E3E3C
	s_add_u32 s28, s62, s28                                    // 000000002E88: 801C1C3E
	s_addc_u32 s29, 0, s29                                     // 000000002E8C: 821D1D80
	s_mov_b32 s4, 4                                            // 000000002E90: BE840084
	s_mov_b32 s57, 0x80                                        // 000000002E94: BEB900FF 00000080
	s_mov_b32 s58, 0x800                                       // 000000002E9C: BEBA00FF 00000800
	s_mov_b32 s83, s58                                         // 000000002EA4: BED3003A
	s_mov_b32 s52, 0x7060302                                   // 000000002EA8: BEB400FF 07060302
	s_mov_b32 s53, 0x400                                       // 000000002EB0: BEB500FF 00000400
	s_mov_b32 s54, 0x40100                                     // 000000002EB8: BEB600FF 00040100
	s_mov_b32 s55, 0x4020100                                   // 000000002EC0: BEB700FF 04020100
	s_mov_b32 s6, 0x3fb8aa3b                                   // 000000002EC8: BE8600FF 3FB8AA3B
	s_mov_b32 s78, 0xbd92220c                                  // 000000002ED0: BECE00FF BD92220C
	s_mov_b32 s79, 0xbd92220c                                  // 000000002ED8: BECF00FF BD92220C
	s_mov_b32 m0, s48                                          // 000000002EE0: BEFC0030
	v_mov_b32_e32 v1, 0xbfcc4231                               // 000000002EE4: 7E0202FF BFCC4231
	v_mov_b32_e32 v17, 0xffff0000                              // 000000002EEC: 7E2202FF FFFF0000
	v_mov_b32_e32 v18, 0x7fff0000                              // 000000002EF4: 7E2402FF 7FFF0000
	v_mov_b32_e32 v19, 0x7fff                                  // 000000002EFC: 7E2602FF 00007FFF
	s_waitcnt vmcnt(0) expcnt(0) lgkmcnt(0)                    // 000000002F04: BF8C0000
	v_lshrrev_b32_e32 v4, 5, v0                                // 000000002F08: 20080085
	v_xor_b32_e32 v5, 1, v4                                    // 000000002F0C: 2A0A0881
	v_readlane_b32 s82, v3, 0                                  // 000000002F10: D2890052 00010103
	s_and_b32 s82, s82, 0xffffff                               // 000000002F18: 8652FF52 00FFFFFF
	v_mul_lo_u32 v6, v5, s82                                   // 000000002F20: D2850006 0000A505
	v_readlane_b32 s82, v3, 1                                  // 000000002F28: D2890052 00010303
	s_and_b32 s82, s82, 0xffffff                               // 000000002F30: 8652FF52 00FFFFFF
	v_mul_lo_u32 v7, v4, s82                                   // 000000002F38: D2850007 0000A504
	v_add_u32_e32 v36, v6, v7                                  // 000000002F40: 68480F06
	v_mul_lo_u32 v36, v36, s68                                 // 000000002F44: D2850024 00008924
	v_readlane_b32 s82, v3, 2                                  // 000000002F4C: D2890052 00010503
	s_and_b32 s82, s82, 0xffffff                               // 000000002F54: 8652FF52 00FFFFFF
	v_mul_lo_u32 v6, v5, s82                                   // 000000002F5C: D2850006 0000A505
	v_readlane_b32 s82, v3, 3                                  // 000000002F64: D2890052 00010703
	s_and_b32 s82, s82, 0xffffff                               // 000000002F6C: 8652FF52 00FFFFFF
	v_mul_lo_u32 v7, v4, s82                                   // 000000002F74: D2850007 0000A504
	v_add_u32_e32 v37, v6, v7                                  // 000000002F7C: 684A0F06
	v_mul_lo_u32 v37, v37, s68                                 // 000000002F80: D2850025 00008925
	v_readlane_b32 s82, v3, 4                                  // 000000002F88: D2890052 00010903
	s_and_b32 s82, s82, 0xffffff                               // 000000002F90: 8652FF52 00FFFFFF
	v_mul_lo_u32 v6, v5, s82                                   // 000000002F98: D2850006 0000A505
	v_readlane_b32 s82, v3, 5                                  // 000000002FA0: D2890052 00010B03
	s_and_b32 s82, s82, 0xffffff                               // 000000002FA8: 8652FF52 00FFFFFF
	v_mul_lo_u32 v7, v4, s82                                   // 000000002FB0: D2850007 0000A504
	v_add_u32_e32 v38, v6, v7                                  // 000000002FB8: 684C0F06
	v_mul_lo_u32 v38, v38, s68                                 // 000000002FBC: D2850026 00008926
	v_readlane_b32 s82, v3, 6                                  // 000000002FC4: D2890052 00010D03
	s_and_b32 s82, s82, 0xffffff                               // 000000002FCC: 8652FF52 00FFFFFF
	v_mul_lo_u32 v6, v5, s82                                   // 000000002FD4: D2850006 0000A505
	v_readlane_b32 s82, v3, 7                                  // 000000002FDC: D2890052 00010F03
	s_and_b32 s82, s82, 0xffffff                               // 000000002FE4: 8652FF52 00FFFFFF
	v_mul_lo_u32 v7, v4, s82                                   // 000000002FEC: D2850007 0000A504
	v_add_u32_e32 v39, v6, v7                                  // 000000002FF4: 684E0F06
	v_mul_lo_u32 v39, v39, s68                                 // 000000002FF8: D2850027 00008927
	v_and_b32_e32 v4, 31, v0                                   // 000000003000: 2608009F
	v_lshlrev_b32_e32 v4, 2, v4                                // 000000003004: 24080882
	v_add_u32_e32 v36, v36, v4                                 // 000000003008: 68480924
	v_add_u32_e32 v37, v37, v4                                 // 00000000300C: 684A0925
	v_add_u32_e32 v38, v38, v4                                 // 000000003010: 684C0926
	v_add_u32_e32 v39, v39, v4                                 // 000000003014: 684E0927
	v_and_b32_e32 v28, 0xffffff, v28                           // 000000003018: 263838FF 00FFFFFF
	v_lshlrev_b32_e32 v28, 2, v28                              // 000000003020: 24383882
	v_and_b32_e32 v29, 0xffffff, v29                           // 000000003024: 263A3AFF 00FFFFFF
	v_lshlrev_b32_e32 v29, 2, v29                              // 00000000302C: 243A3A82
	s_lshl_b32 s3, s66, 2                                      // 000000003030: 8E038242
	buffer_load_dword v36, s[20:23], 0 offen lds               // 000000003034: E0511000 80050024
	s_add_u32 m0, 0x100, s48                                   // 00000000303C: 807C30FF 00000100
	buffer_load_dword v37, s[20:23], 0 offen lds               // 000000003044: E0511000 80050025
	s_add_u32 m0, 0x200, s48                                   // 00000000304C: 807C30FF 00000200
	buffer_load_dword v38, s[20:23], 0 offen lds               // 000000003054: E0511000 80050026
	s_add_u32 m0, 0x300, s48                                   // 00000000305C: 807C30FF 00000300
	buffer_load_dword v39, s[20:23], 0 offen lds               // 000000003064: E0511000 80050027
	s_add_u32 m0, 0, s49                                       // 00000000306C: 807C3180
	s_add_u32 s20, s57, s20                                    // 000000003070: 80141439
	s_addc_u32 s21, 0, s21                                     // 000000003074: 82151580
	buffer_load_dword v30, v28, s[28:31], 0 offen              // 000000003078: E0501000 80071E1C
	buffer_load_dword v31, v29, s[28:31], 0 offen              // 000000003080: E0501000 80071F1D
	s_add_u32 s28, s3, s28                                     // 000000003088: 801C1C03
	s_addc_u32 s29, 0, s29                                     // 00000000308C: 821D1D80
	buffer_load_dword v36, s[20:23], 0 offen lds               // 000000003090: E0511000 80050024
	s_add_u32 m0, 0x100, s49                                   // 000000003098: 807C31FF 00000100
	buffer_load_dword v37, s[20:23], 0 offen lds               // 0000000030A0: E0511000 80050025
	s_add_u32 m0, 0x200, s49                                   // 0000000030A8: 807C31FF 00000200
	buffer_load_dword v38, s[20:23], 0 offen lds               // 0000000030B0: E0511000 80050026
	s_add_u32 m0, 0x300, s49                                   // 0000000030B8: 807C31FF 00000300
	buffer_load_dword v39, s[20:23], 0 offen lds               // 0000000030C0: E0511000 80050027
	s_add_u32 m0, 0, s48                                       // 0000000030C8: 807C3080
	s_add_u32 s20, s57, s20                                    // 0000000030CC: 80141439
	s_addc_u32 s21, 0, s21                                     // 0000000030D0: 82151580
	buffer_load_dword v32, v28, s[28:31], 0 offen              // 0000000030D4: E0501000 8007201C
	buffer_load_dword v33, v29, s[28:31], 0 offen              // 0000000030DC: E0501000 8007211D
	s_add_u32 s28, s3, s28                                     // 0000000030E4: 801C1C03
	s_addc_u32 s29, 0, s29                                     // 0000000030E8: 821D1D80
	buffer_load_dword v24, v22, s[32:35], 0 offen              // 0000000030EC: E0501000 80081816
	buffer_load_dwordx4 a[32:35], v40, s[24:27], 0 offen       // 0000000030F4: E05C1000 80862028
	buffer_load_dwordx4 a[36:39], v40, s[24:27], 0 offen offset:1024// 0000000030FC: E05C1400 80862428
	buffer_load_dwordx4 a[40:43], v41, s[24:27], 0 offen       // 000000003104: E05C1000 80862829
	buffer_load_dwordx4 a[44:47], v41, s[24:27], 0 offen offset:1024// 00000000310C: E05C1400 80862C29
	s_add_u32 s24, s58, s24                                    // 000000003114: 8018183A
	s_addc_u32 s25, 0, s25                                     // 000000003118: 82191980
	s_waitcnt vmcnt(13)                                        // 00000000311C: BF8C0F7D
	s_barrier                                                  // 000000003120: BF8A0000
	ds_read_b128 a[0:3], v2                                    // 000000003124: DBFE0000 00000002
	ds_read_b128 a[4:7], v2 offset:64                          // 00000000312C: DBFE0040 04000002
	ds_read_b128 a[8:11], v2 offset:512                        // 000000003134: DBFE0200 08000002
	ds_read_b128 a[12:15], v2 offset:576                       // 00000000313C: DBFE0240 0C000002
	s_cmp_lt_i32 s7, 2                                         // 000000003144: BF048207
	s_cbranch_scc0 label_0898                                  // 000000003148: BF8406C2

000000000000314c <label_01D3>:
	s_waitcnt vmcnt(2) lgkmcnt(0)                              // 00000000314C: BF8C0072
	s_barrier                                                  // 000000003150: BF8A0000
	v_mov_b32_e32 v34, v30                                     // 000000003154: 7E44031E
	v_mov_b32_e32 v35, v31                                     // 000000003158: 7E46031F
	v_mul_f32_dpp v4, v24, v34 row_newbcast:0 row_mask:0xf bank_mask:0xf// 00000000315C: 0A0844FA FF015018
	v_mfma_f32_16x16x32_fp8_fp8 v[8:11], a[32:33], a[0:1], 0   // 000000003164: D3F30008 1A020120
	buffer_load_dword v27, v23, s[32:35], 0 offen              // 00000000316C: E0501000 80081B17
	v_mfma_f32_16x16x32_fp8_fp8 v[8:11], a[34:35], a[2:3], v[8:11]// 000000003174: D3F30008 1C220522
	buffer_load_dwordx4 a[48:51], v40, s[84:87], 0 offen       // 00000000317C: E05C1000 80953028
	v_mfma_f32_16x16x32_fp8_fp8 v[8:11], a[36:37], a[4:5], v[8:11]// 000000003184: D3F30008 1C220924
	v_mfma_f32_16x16x32_fp8_fp8 v[8:11], a[38:39], a[6:7], v[8:11]// 00000000318C: D3F30008 1C220D26
	v_mul_f32_dpp v6, v24, v35 row_newbcast:0 row_mask:0xf bank_mask:0xf// 000000003194: 0A0C46FA FF015018
	v_mfma_f32_16x16x32_fp8_fp8 v[12:15], a[32:33], a[8:9], 0  // 00000000319C: D3F3000C 1A021120
	v_mfma_f32_16x16x32_fp8_fp8 v[12:15], a[34:35], a[10:11], v[12:15]// 0000000031A4: D3F3000C 1C321522
	buffer_load_dwordx4 a[52:55], v40, s[84:87], 0 offen offset:1024// 0000000031AC: E05C1400 80953428
	v_mfma_f32_16x16x32_fp8_fp8 v[12:15], a[36:37], a[12:13], v[12:15]// 0000000031B4: D3F3000C 1C321924
	v_mfma_f32_16x16x32_fp8_fp8 v[12:15], a[38:39], a[14:15], v[12:15]// 0000000031BC: D3F3000C 1C321D26
	v_fma_f32 v44, v8, v4, v44                                 // 0000000031C4: D1CB002C 04B20908
	v_fma_f32 v45, v9, v4, v45                                 // 0000000031CC: D1CB002D 04B60909
	v_fma_f32 v46, v10, v4, v46                                // 0000000031D4: D1CB002E 04BA090A
	v_fma_f32 v47, v11, v4, v47                                // 0000000031DC: D1CB002F 04BE090B
	s_waitcnt vmcnt(3)                                         // 0000000031E4: BF8C0F73
	v_mul_f32_dpp v4, v24, v34 row_newbcast:0 row_mask:0xf bank_mask:0xf// 0000000031E8: 0A0844FA FF015018
	v_mfma_f32_16x16x32_fp8_fp8 v[8:11], a[40:41], a[0:1], 0   // 0000000031F0: D3F30008 1A020128
	v_mfma_f32_16x16x32_fp8_fp8 v[8:11], a[42:43], a[2:3], v[8:11]// 0000000031F8: D3F30008 1C22052A
	buffer_load_dwordx4 a[56:59], v41, s[84:87], 0 offen       // 000000003200: E05C1000 80953829
	v_mfma_f32_16x16x32_fp8_fp8 v[8:11], a[44:45], a[4:5], v[8:11]// 000000003208: D3F30008 1C22092C
	v_mfma_f32_16x16x32_fp8_fp8 v[8:11], a[46:47], a[6:7], v[8:11]// 000000003210: D3F30008 1C220D2E
	v_fma_f32 v48, v12, v6, v48                                // 000000003218: D1CB0030 04C20D0C
	v_fma_f32 v49, v13, v6, v49                                // 000000003220: D1CB0031 04C60D0D
	v_fma_f32 v50, v14, v6, v50                                // 000000003228: D1CB0032 04CA0D0E
	v_fma_f32 v51, v15, v6, v51                                // 000000003230: D1CB0033 04CE0D0F
	v_mul_f32_dpp v6, v24, v35 row_newbcast:0 row_mask:0xf bank_mask:0xf// 000000003238: 0A0C46FA FF015018
	v_mfma_f32_16x16x32_fp8_fp8 v[12:15], a[40:41], a[8:9], 0  // 000000003240: D3F3000C 1A021128
	v_mfma_f32_16x16x32_fp8_fp8 v[12:15], a[42:43], a[10:11], v[12:15]// 000000003248: D3F3000C 1C32152A
	buffer_load_dwordx4 a[60:63], v41, s[84:87], 0 offen offset:1024// 000000003250: E05C1400 80953C29
	buffer_load_dword v36, s[20:23], 0 offen lds               // 000000003258: E0511000 80050024
	s_add_u32 m0, 0x100, s48                                   // 000000003260: 807C30FF 00000100
	s_add_u32 s60, 0x80, s80                                   // 000000003268: 803C50FF 00000080
	s_cmp_lt_u32 s60, s81                                      // 000000003270: BF0A513C
	s_cselect_b32 s83, s83, 0                                  // 000000003274: 85538053
	s_cselect_b32 s4, s4, 0                                    // 000000003278: 85048004
	v_mfma_f32_16x16x32_fp8_fp8 v[12:15], a[44:45], a[12:13], v[12:15]// 00000000327C: D3F3000C 1C32192C
	s_add_u32 s32, s4, s32                                     // 000000003284: 80202004
	s_addc_u32 s33, 0, s33                                     // 000000003288: 82212180
	v_mfma_f32_16x16x32_fp8_fp8 v[12:15], a[46:47], a[14:15], v[12:15]// 00000000328C: D3F3000C 1C321D2E
	buffer_load_dword v37, s[20:23], 0 offen lds               // 000000003294: E0511000 80050025
	s_add_u32 m0, 0x200, s48                                   // 00000000329C: 807C30FF 00000200
	v_fma_f32 v52, v8, v4, v52                                 // 0000000032A4: D1CB0034 04D20908
	v_fma_f32 v53, v9, v4, v53                                 // 0000000032AC: D1CB0035 04D60909
	v_fma_f32 v54, v10, v4, v54                                // 0000000032B4: D1CB0036 04DA090A
	v_fma_f32 v55, v11, v4, v55                                // 0000000032BC: D1CB0037 04DE090B
	v_fma_f32 v56, v12, v6, v56                                // 0000000032C4: D1CB0038 04E20D0C
	v_fma_f32 v57, v13, v6, v57                                // 0000000032CC: D1CB0039 04E60D0D
	v_fma_f32 v58, v14, v6, v58                                // 0000000032D4: D1CB003A 04EA0D0E
	v_fma_f32 v59, v15, v6, v59                                // 0000000032DC: D1CB003B 04EE0D0F
	buffer_load_dword v38, s[20:23], 0 offen lds               // 0000000032E4: E0511000 80050026
	s_add_u32 m0, 0x300, s48                                   // 0000000032EC: 807C30FF 00000300
	buffer_load_dword v39, s[20:23], 0 offen lds               // 0000000032F4: E0511000 80050027
	s_add_u32 m0, 0, s49                                       // 0000000032FC: 807C3180
	buffer_load_dword v30, v28, s[28:31], 0 offen              // 000000003300: E0501000 80071E1C
	buffer_load_dword v31, v29, s[28:31], 0 offen              // 000000003308: E0501000 80071F1D
	s_waitcnt vmcnt(6)                                         // 000000003310: BF8C0F76
	v_mul_f32_dpp v4, v27, v34 row_newbcast:0 row_mask:0xf bank_mask:0xf// 000000003314: 0A0844FA FF01501B
	v_mfma_f32_16x16x32_fp8_fp8 v[8:11], a[48:49], a[0:1], 0   // 00000000331C: D3F30008 1A020130
	buffer_load_dword v24, v22, s[32:35], 0 offen              // 000000003324: E0501000 80081816
	v_mfma_f32_16x16x32_fp8_fp8 v[8:11], a[50:51], a[2:3], v[8:11]// 00000000332C: D3F30008 1C220532
	buffer_load_dwordx4 a[32:35], v40, s[24:27], 0 offen       // 000000003334: E05C1000 80862028
	v_mfma_f32_16x16x32_fp8_fp8 v[8:11], a[52:53], a[4:5], v[8:11]// 00000000333C: D3F30008 1C220934
	v_mfma_f32_16x16x32_fp8_fp8 v[8:11], a[54:55], a[6:7], v[8:11]// 000000003344: D3F30008 1C220D36
	ds_read_b128 a[16:19], v2 offset:4224                      // 00000000334C: DBFE1080 10000002
	ds_read_b128 a[20:23], v2 offset:4288                      // 000000003354: DBFE10C0 14000002
	v_mfma_f32_16x16x32_fp8_fp8 v[12:15], a[56:57], a[0:1], 0  // 00000000335C: D3F3000C 1A020138
	v_mfma_f32_16x16x32_fp8_fp8 v[12:15], a[58:59], a[2:3], v[12:15]// 000000003364: D3F3000C 1C32053A
	buffer_load_dwordx4 a[36:39], v40, s[24:27], 0 offen offset:1024// 00000000336C: E05C1400 80862428
	v_mfma_f32_16x16x32_fp8_fp8 v[12:15], a[60:61], a[4:5], v[12:15]// 000000003374: D3F3000C 1C32093C
	v_mfma_f32_16x16x32_fp8_fp8 v[12:15], a[62:63], a[6:7], v[12:15]// 00000000337C: D3F3000C 1C320D3E
	ds_read_b128 a[24:27], v2 offset:4736                      // 000000003384: DBFE1280 18000002
	ds_read_b128 a[28:31], v2 offset:4800                      // 00000000338C: DBFE12C0 1C000002
	v_fma_f32 v60, v8, v4, v60                                 // 000000003394: D1CB003C 04F20908
	v_fma_f32 v61, v9, v4, v61                                 // 00000000339C: D1CB003D 04F60909
	v_fma_f32 v62, v10, v4, v62                                // 0000000033A4: D1CB003E 04FA090A
	v_fma_f32 v63, v11, v4, v63                                // 0000000033AC: D1CB003F 04FE090B
	v_mul_f32_dpp v6, v27, v35 row_newbcast:0 row_mask:0xf bank_mask:0xf// 0000000033B4: 0A0C46FA FF01501B
	v_mfma_f32_16x16x32_fp8_fp8 v[8:11], a[48:49], a[8:9], 0   // 0000000033BC: D3F30008 1A021130
	v_mfma_f32_16x16x32_fp8_fp8 v[8:11], a[50:51], a[10:11], v[8:11]// 0000000033C4: D3F30008 1C221532
	buffer_load_dwordx4 a[40:43], v41, s[24:27], 0 offen       // 0000000033CC: E05C1000 80862829
	v_mfma_f32_16x16x32_fp8_fp8 v[8:11], a[52:53], a[12:13], v[8:11]// 0000000033D4: D3F30008 1C221934
	s_add_u32 s60, 0x180, s80                                  // 0000000033DC: 803C50FF 00000180
	s_cmp_lt_u32 s60, s81                                      // 0000000033E4: BF0A513C
	s_cselect_b32 s57, s57, 0                                  // 0000000033E8: 85398039
	s_cselect_b32 s3, s3, 0                                    // 0000000033EC: 85038003
	v_mfma_f32_16x16x32_fp8_fp8 v[8:11], a[54:55], a[14:15], v[8:11]// 0000000033F0: D3F30008 1C221D36
	s_add_u32 s60, 0x100, s80                                  // 0000000033F8: 803C50FF 00000100
	s_cmp_lt_u32 s60, s81                                      // 000000003400: BF0A513C
	s_cselect_b32 s58, s58, 0                                  // 000000003404: 853A803A
	v_fma_f32 v68, v12, v4, v68                                // 000000003408: D1CB0044 0512090C
	v_fma_f32 v69, v13, v4, v69                                // 000000003410: D1CB0045 0516090D
	v_fma_f32 v70, v14, v4, v70                                // 000000003418: D1CB0046 051A090E
	v_fma_f32 v71, v15, v4, v71                                // 000000003420: D1CB0047 051E090F
	v_mfma_f32_16x16x32_fp8_fp8 v[12:15], a[56:57], a[8:9], 0  // 000000003428: D3F3000C 1A021138
	v_mfma_f32_16x16x32_fp8_fp8 v[12:15], a[58:59], a[10:11], v[12:15]// 000000003430: D3F3000C 1C32153A
	buffer_load_dwordx4 a[44:47], v41, s[24:27], 0 offen offset:1024// 000000003438: E05C1400 80862C29
	s_add_u32 s20, s57, s20                                    // 000000003440: 80141439
	s_addc_u32 s21, 0, s21                                     // 000000003444: 82151580
	s_add_u32 s28, s3, s28                                     // 000000003448: 801C1C03
	s_addc_u32 s29, 0, s29                                     // 00000000344C: 821D1D80
	v_mfma_f32_16x16x32_fp8_fp8 v[12:15], a[60:61], a[12:13], v[12:15]// 000000003450: D3F3000C 1C32193C
	s_add_u32 s84, s83, s84                                    // 000000003458: 80545453
	s_addc_u32 s85, 0, s85                                     // 00000000345C: 82555580
	v_mfma_f32_16x16x32_fp8_fp8 v[12:15], a[62:63], a[14:15], v[12:15]// 000000003460: D3F3000C 1C321D3E
	v_fma_f32 v64, v8, v6, v64                                 // 000000003468: D1CB0040 05020D08
	v_fma_f32 v65, v9, v6, v65                                 // 000000003470: D1CB0041 05060D09
	v_fma_f32 v66, v10, v6, v66                                // 000000003478: D1CB0042 050A0D0A
	v_fma_f32 v67, v11, v6, v67                                // 000000003480: D1CB0043 050E0D0B
	v_fma_f32 v72, v12, v6, v72                                // 000000003488: D1CB0048 05220D0C
	v_fma_f32 v73, v13, v6, v73                                // 000000003490: D1CB0049 05260D0D
	v_fma_f32 v74, v14, v6, v74                                // 000000003498: D1CB004A 052A0D0E
	v_fma_f32 v75, v15, v6, v75                                // 0000000034A0: D1CB004B 052E0D0F
	s_add_u32 s24, s58, s24                                    // 0000000034A8: 8018183A
	s_addc_u32 s25, 0, s25                                     // 0000000034AC: 82191980
	s_addk_i32 s80, 0x80                                       // 0000000034B0: B7500080
	s_cmp_lt_i32 s80, s81                                      // 0000000034B4: BF045150
	s_cbranch_scc0 label_038C                                  // 0000000034B8: BF8400DD
	s_waitcnt vmcnt(2) lgkmcnt(0)                              // 0000000034BC: BF8C0072
	s_barrier                                                  // 0000000034C0: BF8A0000
	v_mov_b32_e32 v34, v32                                     // 0000000034C4: 7E440320
	v_mov_b32_e32 v35, v33                                     // 0000000034C8: 7E460321
	v_mul_f32_dpp v4, v24, v34 row_newbcast:0 row_mask:0xf bank_mask:0xf// 0000000034CC: 0A0844FA FF015018
	v_mfma_f32_16x16x32_fp8_fp8 v[8:11], a[32:33], a[16:17], 0 // 0000000034D4: D3F30008 1A022120
	buffer_load_dword v27, v23, s[32:35], 0 offen              // 0000000034DC: E0501000 80081B17
	v_mfma_f32_16x16x32_fp8_fp8 v[8:11], a[34:35], a[18:19], v[8:11]// 0000000034E4: D3F30008 1C222522
	buffer_load_dwordx4 a[48:51], v40, s[84:87], 0 offen       // 0000000034EC: E05C1000 80953028
	v_mfma_f32_16x16x32_fp8_fp8 v[8:11], a[36:37], a[20:21], v[8:11]// 0000000034F4: D3F30008 1C222924
	v_mfma_f32_16x16x32_fp8_fp8 v[8:11], a[38:39], a[22:23], v[8:11]// 0000000034FC: D3F30008 1C222D26
	v_mul_f32_dpp v6, v24, v35 row_newbcast:0 row_mask:0xf bank_mask:0xf// 000000003504: 0A0C46FA FF015018
	v_mfma_f32_16x16x32_fp8_fp8 v[12:15], a[32:33], a[24:25], 0// 00000000350C: D3F3000C 1A023120
	v_mfma_f32_16x16x32_fp8_fp8 v[12:15], a[34:35], a[26:27], v[12:15]// 000000003514: D3F3000C 1C323522
	buffer_load_dwordx4 a[52:55], v40, s[84:87], 0 offen offset:1024// 00000000351C: E05C1400 80953428
	v_mfma_f32_16x16x32_fp8_fp8 v[12:15], a[36:37], a[28:29], v[12:15]// 000000003524: D3F3000C 1C323924
	v_mfma_f32_16x16x32_fp8_fp8 v[12:15], a[38:39], a[30:31], v[12:15]// 00000000352C: D3F3000C 1C323D26
	v_fma_f32 v44, v8, v4, v44                                 // 000000003534: D1CB002C 04B20908
	v_fma_f32 v45, v9, v4, v45                                 // 00000000353C: D1CB002D 04B60909
	v_fma_f32 v46, v10, v4, v46                                // 000000003544: D1CB002E 04BA090A
	v_fma_f32 v47, v11, v4, v47                                // 00000000354C: D1CB002F 04BE090B
	s_waitcnt vmcnt(3)                                         // 000000003554: BF8C0F73
	v_mul_f32_dpp v4, v24, v34 row_newbcast:0 row_mask:0xf bank_mask:0xf// 000000003558: 0A0844FA FF015018
	v_mfma_f32_16x16x32_fp8_fp8 v[8:11], a[40:41], a[16:17], 0 // 000000003560: D3F30008 1A022128
	v_mfma_f32_16x16x32_fp8_fp8 v[8:11], a[42:43], a[18:19], v[8:11]// 000000003568: D3F30008 1C22252A
	buffer_load_dwordx4 a[56:59], v41, s[84:87], 0 offen       // 000000003570: E05C1000 80953829
	v_mfma_f32_16x16x32_fp8_fp8 v[8:11], a[44:45], a[20:21], v[8:11]// 000000003578: D3F30008 1C22292C
	v_mfma_f32_16x16x32_fp8_fp8 v[8:11], a[46:47], a[22:23], v[8:11]// 000000003580: D3F30008 1C222D2E
	v_fma_f32 v48, v12, v6, v48                                // 000000003588: D1CB0030 04C20D0C
	v_fma_f32 v49, v13, v6, v49                                // 000000003590: D1CB0031 04C60D0D
	v_fma_f32 v50, v14, v6, v50                                // 000000003598: D1CB0032 04CA0D0E
	v_fma_f32 v51, v15, v6, v51                                // 0000000035A0: D1CB0033 04CE0D0F
	v_mul_f32_dpp v6, v24, v35 row_newbcast:0 row_mask:0xf bank_mask:0xf// 0000000035A8: 0A0C46FA FF015018
	v_mfma_f32_16x16x32_fp8_fp8 v[12:15], a[40:41], a[24:25], 0// 0000000035B0: D3F3000C 1A023128
	v_mfma_f32_16x16x32_fp8_fp8 v[12:15], a[42:43], a[26:27], v[12:15]// 0000000035B8: D3F3000C 1C32352A
	buffer_load_dwordx4 a[60:63], v41, s[84:87], 0 offen offset:1024// 0000000035C0: E05C1400 80953C29
	buffer_load_dword v36, s[20:23], 0 offen lds               // 0000000035C8: E0511000 80050024
	s_add_u32 m0, 0x100, s49                                   // 0000000035D0: 807C31FF 00000100
	s_add_u32 s60, 0x80, s80                                   // 0000000035D8: 803C50FF 00000080
	s_cmp_lt_u32 s60, s81                                      // 0000000035E0: BF0A513C
	s_cselect_b32 s83, s83, 0                                  // 0000000035E4: 85538053
	s_cselect_b32 s4, s4, 0                                    // 0000000035E8: 85048004
	v_mfma_f32_16x16x32_fp8_fp8 v[12:15], a[44:45], a[28:29], v[12:15]// 0000000035EC: D3F3000C 1C32392C
	s_add_u32 s32, s4, s32                                     // 0000000035F4: 80202004
	s_addc_u32 s33, 0, s33                                     // 0000000035F8: 82212180
	v_mfma_f32_16x16x32_fp8_fp8 v[12:15], a[46:47], a[30:31], v[12:15]// 0000000035FC: D3F3000C 1C323D2E
	buffer_load_dword v37, s[20:23], 0 offen lds               // 000000003604: E0511000 80050025
	s_add_u32 m0, 0x200, s49                                   // 00000000360C: 807C31FF 00000200
	v_fma_f32 v52, v8, v4, v52                                 // 000000003614: D1CB0034 04D20908
	v_fma_f32 v53, v9, v4, v53                                 // 00000000361C: D1CB0035 04D60909
	v_fma_f32 v54, v10, v4, v54                                // 000000003624: D1CB0036 04DA090A
	v_fma_f32 v55, v11, v4, v55                                // 00000000362C: D1CB0037 04DE090B
	v_fma_f32 v56, v12, v6, v56                                // 000000003634: D1CB0038 04E20D0C
	v_fma_f32 v57, v13, v6, v57                                // 00000000363C: D1CB0039 04E60D0D
	v_fma_f32 v58, v14, v6, v58                                // 000000003644: D1CB003A 04EA0D0E
	v_fma_f32 v59, v15, v6, v59                                // 00000000364C: D1CB003B 04EE0D0F
	buffer_load_dword v38, s[20:23], 0 offen lds               // 000000003654: E0511000 80050026
	s_add_u32 m0, 0x300, s49                                   // 00000000365C: 807C31FF 00000300
	buffer_load_dword v39, s[20:23], 0 offen lds               // 000000003664: E0511000 80050027
	s_add_u32 m0, 0, s48                                       // 00000000366C: 807C3080
	buffer_load_dword v32, v28, s[28:31], 0 offen              // 000000003670: E0501000 8007201C
	buffer_load_dword v33, v29, s[28:31], 0 offen              // 000000003678: E0501000 8007211D
	s_waitcnt vmcnt(6)                                         // 000000003680: BF8C0F76
	v_mul_f32_dpp v4, v27, v34 row_newbcast:0 row_mask:0xf bank_mask:0xf// 000000003684: 0A0844FA FF01501B
	v_mfma_f32_16x16x32_fp8_fp8 v[8:11], a[48:49], a[16:17], 0 // 00000000368C: D3F30008 1A022130
	buffer_load_dword v24, v22, s[32:35], 0 offen              // 000000003694: E0501000 80081816
	v_mfma_f32_16x16x32_fp8_fp8 v[8:11], a[50:51], a[18:19], v[8:11]// 00000000369C: D3F30008 1C222532
	buffer_load_dwordx4 a[32:35], v40, s[24:27], 0 offen       // 0000000036A4: E05C1000 80862028
	v_mfma_f32_16x16x32_fp8_fp8 v[8:11], a[52:53], a[20:21], v[8:11]// 0000000036AC: D3F30008 1C222934
	v_mfma_f32_16x16x32_fp8_fp8 v[8:11], a[54:55], a[22:23], v[8:11]// 0000000036B4: D3F30008 1C222D36
	ds_read_b128 a[0:3], v2                                    // 0000000036BC: DBFE0000 00000002
	ds_read_b128 a[4:7], v2 offset:64                          // 0000000036C4: DBFE0040 04000002
	v_mfma_f32_16x16x32_fp8_fp8 v[12:15], a[56:57], a[16:17], 0// 0000000036CC: D3F3000C 1A022138
	v_mfma_f32_16x16x32_fp8_fp8 v[12:15], a[58:59], a[18:19], v[12:15]// 0000000036D4: D3F3000C 1C32253A
	buffer_load_dwordx4 a[36:39], v40, s[24:27], 0 offen offset:1024// 0000000036DC: E05C1400 80862428
	v_mfma_f32_16x16x32_fp8_fp8 v[12:15], a[60:61], a[20:21], v[12:15]// 0000000036E4: D3F3000C 1C32293C
	v_mfma_f32_16x16x32_fp8_fp8 v[12:15], a[62:63], a[22:23], v[12:15]// 0000000036EC: D3F3000C 1C322D3E
	ds_read_b128 a[8:11], v2 offset:512                        // 0000000036F4: DBFE0200 08000002
	ds_read_b128 a[12:15], v2 offset:576                       // 0000000036FC: DBFE0240 0C000002
	v_fma_f32 v60, v8, v4, v60                                 // 000000003704: D1CB003C 04F20908
	v_fma_f32 v61, v9, v4, v61                                 // 00000000370C: D1CB003D 04F60909
	v_fma_f32 v62, v10, v4, v62                                // 000000003714: D1CB003E 04FA090A
	v_fma_f32 v63, v11, v4, v63                                // 00000000371C: D1CB003F 04FE090B
	v_mul_f32_dpp v6, v27, v35 row_newbcast:0 row_mask:0xf bank_mask:0xf// 000000003724: 0A0C46FA FF01501B
	v_mfma_f32_16x16x32_fp8_fp8 v[8:11], a[48:49], a[24:25], 0 // 00000000372C: D3F30008 1A023130
	v_mfma_f32_16x16x32_fp8_fp8 v[8:11], a[50:51], a[26:27], v[8:11]// 000000003734: D3F30008 1C223532
	buffer_load_dwordx4 a[40:43], v41, s[24:27], 0 offen       // 00000000373C: E05C1000 80862829
	v_mfma_f32_16x16x32_fp8_fp8 v[8:11], a[52:53], a[28:29], v[8:11]// 000000003744: D3F30008 1C223934
	s_add_u32 s60, 0x180, s80                                  // 00000000374C: 803C50FF 00000180
	s_cmp_lt_u32 s60, s81                                      // 000000003754: BF0A513C
	s_cselect_b32 s57, s57, 0                                  // 000000003758: 85398039
	s_cselect_b32 s3, s3, 0                                    // 00000000375C: 85038003
	v_mfma_f32_16x16x32_fp8_fp8 v[8:11], a[54:55], a[30:31], v[8:11]// 000000003760: D3F30008 1C223D36
	s_add_u32 s60, 0x100, s80                                  // 000000003768: 803C50FF 00000100
	s_cmp_lt_u32 s60, s81                                      // 000000003770: BF0A513C
	s_cselect_b32 s58, s58, 0                                  // 000000003774: 853A803A
	v_fma_f32 v68, v12, v4, v68                                // 000000003778: D1CB0044 0512090C
	v_fma_f32 v69, v13, v4, v69                                // 000000003780: D1CB0045 0516090D
	v_fma_f32 v70, v14, v4, v70                                // 000000003788: D1CB0046 051A090E
	v_fma_f32 v71, v15, v4, v71                                // 000000003790: D1CB0047 051E090F
	v_mfma_f32_16x16x32_fp8_fp8 v[12:15], a[56:57], a[24:25], 0// 000000003798: D3F3000C 1A023138
	v_mfma_f32_16x16x32_fp8_fp8 v[12:15], a[58:59], a[26:27], v[12:15]// 0000000037A0: D3F3000C 1C32353A
	buffer_load_dwordx4 a[44:47], v41, s[24:27], 0 offen offset:1024// 0000000037A8: E05C1400 80862C29
	s_add_u32 s20, s57, s20                                    // 0000000037B0: 80141439
	s_addc_u32 s21, 0, s21                                     // 0000000037B4: 82151580
	s_add_u32 s28, s3, s28                                     // 0000000037B8: 801C1C03
	s_addc_u32 s29, 0, s29                                     // 0000000037BC: 821D1D80
	v_mfma_f32_16x16x32_fp8_fp8 v[12:15], a[60:61], a[28:29], v[12:15]// 0000000037C0: D3F3000C 1C32393C
	s_add_u32 s84, s83, s84                                    // 0000000037C8: 80545453
	s_addc_u32 s85, 0, s85                                     // 0000000037CC: 82555580
	v_mfma_f32_16x16x32_fp8_fp8 v[12:15], a[62:63], a[30:31], v[12:15]// 0000000037D0: D3F3000C 1C323D3E
	v_fma_f32 v64, v8, v6, v64                                 // 0000000037D8: D1CB0040 05020D08
	v_fma_f32 v65, v9, v6, v65                                 // 0000000037E0: D1CB0041 05060D09
	v_fma_f32 v66, v10, v6, v66                                // 0000000037E8: D1CB0042 050A0D0A
	v_fma_f32 v67, v11, v6, v67                                // 0000000037F0: D1CB0043 050E0D0B
	v_fma_f32 v72, v12, v6, v72                                // 0000000037F8: D1CB0048 05220D0C
	v_fma_f32 v73, v13, v6, v73                                // 000000003800: D1CB0049 05260D0D
	v_fma_f32 v74, v14, v6, v74                                // 000000003808: D1CB004A 052A0D0E
	v_fma_f32 v75, v15, v6, v75                                // 000000003810: D1CB004B 052E0D0F
	s_add_u32 s24, s58, s24                                    // 000000003818: 8018183A
	s_addc_u32 s25, 0, s25                                     // 00000000381C: 82191980
	s_addk_i32 s80, 0x80                                       // 000000003820: B7500080
	s_cmp_lt_i32 s80, s81                                      // 000000003824: BF045150
	s_cbranch_scc0 label_038C                                  // 000000003828: BF840001
	s_branch label_01D3                                        // 00000000382C: BF82FE47

0000000000003830 <label_038C>:
	s_cmp_eq_u32 s88, 0                                        // 000000003830: BF068058
	s_cbranch_scc0 label_0673                                  // 000000003834: BF8402E5
	s_cmp_eq_u32 s89, 0                                        // 000000003838: BF068059
	s_cbranch_scc1 label_0435                                  // 00000000383C: BF8500A5
	v_mov_b32_e32 v8, v1                                       // 000000003840: 7E100301
	v_mov_b32_e32 v9, v1                                       // 000000003844: 7E120301
	s_mov_b32 s60, s6                                          // 000000003848: BEBC0006
	s_mov_b32 s61, s6                                          // 00000000384C: BEBD0006
	v_pk_mul_f32 v[4:5], v[44:45], v[44:45]                    // 000000003850: D3B14004 1802592C
	v_pk_mul_f32 v[6:7], v[46:47], v[46:47]                    // 000000003858: D3B14006 18025D2E
	v_pk_fma_f32 v[4:5], v[4:5], s[78:79], v[8:9]              // 000000003860: D3B04004 1C209D04
	v_pk_fma_f32 v[6:7], v[6:7], s[78:79], v[8:9]              // 000000003868: D3B04006 1C209D06
	v_pk_mul_f32 v[4:5], v[4:5], v[44:45]                      // 000000003870: D3B14004 18025904
	v_pk_mul_f32 v[6:7], v[6:7], v[46:47]                      // 000000003878: D3B14006 18025D06
	v_pk_mul_f32 v[4:5], v[4:5], s[60:61]                      // 000000003880: D3B14004 18007904
	v_pk_mul_f32 v[6:7], v[6:7], s[60:61]                      // 000000003888: D3B14006 18007906
	v_exp_f32_e32 v4, v4                                       // 000000003890: 7E084104
	v_exp_f32_e32 v5, v5                                       // 000000003894: 7E0A4105
	v_exp_f32_e32 v6, v6                                       // 000000003898: 7E0C4106
	v_exp_f32_e32 v7, v7                                       // 00000000389C: 7E0E4107
	v_add_f32_e64 v4, v4, 1.0                                  // 0000000038A0: D1010004 0001E504
	v_add_f32_e64 v5, v5, 1.0                                  // 0000000038A8: D1010005 0001E505
	v_add_f32_e64 v6, v6, 1.0                                  // 0000000038B0: D1010006 0001E506
	v_add_f32_e64 v7, v7, 1.0                                  // 0000000038B8: D1010007 0001E507
	v_rcp_f32_e32 v4, v4                                       // 0000000038C0: 7E084504
	v_rcp_f32_e32 v5, v5                                       // 0000000038C4: 7E0A4505
	v_rcp_f32_e32 v6, v6                                       // 0000000038C8: 7E0C4506
	v_rcp_f32_e32 v7, v7                                       // 0000000038CC: 7E0E4507
	v_mul_f32_e32 v44, v44, v4                                 // 0000000038D0: 0A58092C
	v_mul_f32_e32 v45, v45, v5                                 // 0000000038D4: 0A5A0B2D
	v_mul_f32_e32 v46, v46, v6                                 // 0000000038D8: 0A5C0D2E
	v_mul_f32_e32 v47, v47, v7                                 // 0000000038DC: 0A5E0F2F
	v_mul_f32_e32 v44, v44, v60                                // 0000000038E0: 0A58792C
	v_mul_f32_e32 v45, v45, v61                                // 0000000038E4: 0A5A7B2D
	v_mul_f32_e32 v46, v46, v62                                // 0000000038E8: 0A5C7D2E
	v_mul_f32_e32 v47, v47, v63                                // 0000000038EC: 0A5E7F2F
	v_pk_mul_f32 v[4:5], v[48:49], v[48:49]                    // 0000000038F0: D3B14004 18026130
	v_pk_mul_f32 v[6:7], v[50:51], v[50:51]                    // 0000000038F8: D3B14006 18026532
	v_pk_fma_f32 v[4:5], v[4:5], s[78:79], v[8:9]              // 000000003900: D3B04004 1C209D04
	v_pk_fma_f32 v[6:7], v[6:7], s[78:79], v[8:9]              // 000000003908: D3B04006 1C209D06
	v_pk_mul_f32 v[4:5], v[4:5], v[48:49]                      // 000000003910: D3B14004 18026104
	v_pk_mul_f32 v[6:7], v[6:7], v[50:51]                      // 000000003918: D3B14006 18026506
	v_pk_mul_f32 v[4:5], v[4:5], s[60:61]                      // 000000003920: D3B14004 18007904
	v_pk_mul_f32 v[6:7], v[6:7], s[60:61]                      // 000000003928: D3B14006 18007906
	v_exp_f32_e32 v4, v4                                       // 000000003930: 7E084104
	v_exp_f32_e32 v5, v5                                       // 000000003934: 7E0A4105
	v_exp_f32_e32 v6, v6                                       // 000000003938: 7E0C4106
	v_exp_f32_e32 v7, v7                                       // 00000000393C: 7E0E4107
	v_add_f32_e64 v4, v4, 1.0                                  // 000000003940: D1010004 0001E504
	v_add_f32_e64 v5, v5, 1.0                                  // 000000003948: D1010005 0001E505
	v_add_f32_e64 v6, v6, 1.0                                  // 000000003950: D1010006 0001E506
	v_add_f32_e64 v7, v7, 1.0                                  // 000000003958: D1010007 0001E507
	v_rcp_f32_e32 v4, v4                                       // 000000003960: 7E084504
	v_rcp_f32_e32 v5, v5                                       // 000000003964: 7E0A4505
	v_rcp_f32_e32 v6, v6                                       // 000000003968: 7E0C4506
	v_rcp_f32_e32 v7, v7                                       // 00000000396C: 7E0E4507
	v_mul_f32_e32 v48, v48, v4                                 // 000000003970: 0A600930
	v_mul_f32_e32 v49, v49, v5                                 // 000000003974: 0A620B31
	v_mul_f32_e32 v50, v50, v6                                 // 000000003978: 0A640D32
	v_mul_f32_e32 v51, v51, v7                                 // 00000000397C: 0A660F33
	v_mul_f32_e32 v48, v48, v64                                // 000000003980: 0A608130
	v_mul_f32_e32 v49, v49, v65                                // 000000003984: 0A628331
	v_mul_f32_e32 v50, v50, v66                                // 000000003988: 0A648532
	v_mul_f32_e32 v51, v51, v67                                // 00000000398C: 0A668733
	v_pk_mul_f32 v[4:5], v[52:53], v[52:53]                    // 000000003990: D3B14004 18026934
	v_pk_mul_f32 v[6:7], v[54:55], v[54:55]                    // 000000003998: D3B14006 18026D36
	v_pk_fma_f32 v[4:5], v[4:5], s[78:79], v[8:9]              // 0000000039A0: D3B04004 1C209D04
	v_pk_fma_f32 v[6:7], v[6:7], s[78:79], v[8:9]              // 0000000039A8: D3B04006 1C209D06
	v_pk_mul_f32 v[4:5], v[4:5], v[52:53]                      // 0000000039B0: D3B14004 18026904
	v_pk_mul_f32 v[6:7], v[6:7], v[54:55]                      // 0000000039B8: D3B14006 18026D06
	v_pk_mul_f32 v[4:5], v[4:5], s[60:61]                      // 0000000039C0: D3B14004 18007904
	v_pk_mul_f32 v[6:7], v[6:7], s[60:61]                      // 0000000039C8: D3B14006 18007906
	v_exp_f32_e32 v4, v4                                       // 0000000039D0: 7E084104
	v_exp_f32_e32 v5, v5                                       // 0000000039D4: 7E0A4105
	v_exp_f32_e32 v6, v6                                       // 0000000039D8: 7E0C4106
	v_exp_f32_e32 v7, v7                                       // 0000000039DC: 7E0E4107
	v_add_f32_e64 v4, v4, 1.0                                  // 0000000039E0: D1010004 0001E504
	v_add_f32_e64 v5, v5, 1.0                                  // 0000000039E8: D1010005 0001E505
	v_add_f32_e64 v6, v6, 1.0                                  // 0000000039F0: D1010006 0001E506
	v_add_f32_e64 v7, v7, 1.0                                  // 0000000039F8: D1010007 0001E507
	v_rcp_f32_e32 v4, v4                                       // 000000003A00: 7E084504
	v_rcp_f32_e32 v5, v5                                       // 000000003A04: 7E0A4505
	v_rcp_f32_e32 v6, v6                                       // 000000003A08: 7E0C4506
	v_rcp_f32_e32 v7, v7                                       // 000000003A0C: 7E0E4507
	v_mul_f32_e32 v52, v52, v4                                 // 000000003A10: 0A680934
	v_mul_f32_e32 v53, v53, v5                                 // 000000003A14: 0A6A0B35
	v_mul_f32_e32 v54, v54, v6                                 // 000000003A18: 0A6C0D36
	v_mul_f32_e32 v55, v55, v7                                 // 000000003A1C: 0A6E0F37
	v_mul_f32_e32 v52, v52, v68                                // 000000003A20: 0A688934
	v_mul_f32_e32 v53, v53, v69                                // 000000003A24: 0A6A8B35
	v_mul_f32_e32 v54, v54, v70                                // 000000003A28: 0A6C8D36
	v_mul_f32_e32 v55, v55, v71                                // 000000003A2C: 0A6E8F37
	v_pk_mul_f32 v[4:5], v[56:57], v[56:57]                    // 000000003A30: D3B14004 18027138
	v_pk_mul_f32 v[6:7], v[58:59], v[58:59]                    // 000000003A38: D3B14006 1802753A
	v_pk_fma_f32 v[4:5], v[4:5], s[78:79], v[8:9]              // 000000003A40: D3B04004 1C209D04
	v_pk_fma_f32 v[6:7], v[6:7], s[78:79], v[8:9]              // 000000003A48: D3B04006 1C209D06
	v_pk_mul_f32 v[4:5], v[4:5], v[56:57]                      // 000000003A50: D3B14004 18027104
	v_pk_mul_f32 v[6:7], v[6:7], v[58:59]                      // 000000003A58: D3B14006 18027506
	v_pk_mul_f32 v[4:5], v[4:5], s[60:61]                      // 000000003A60: D3B14004 18007904
	v_pk_mul_f32 v[6:7], v[6:7], s[60:61]                      // 000000003A68: D3B14006 18007906
	v_exp_f32_e32 v4, v4                                       // 000000003A70: 7E084104
	v_exp_f32_e32 v5, v5                                       // 000000003A74: 7E0A4105
	v_exp_f32_e32 v6, v6                                       // 000000003A78: 7E0C4106
	v_exp_f32_e32 v7, v7                                       // 000000003A7C: 7E0E4107
	v_add_f32_e64 v4, v4, 1.0                                  // 000000003A80: D1010004 0001E504
	v_add_f32_e64 v5, v5, 1.0                                  // 000000003A88: D1010005 0001E505
	v_add_f32_e64 v6, v6, 1.0                                  // 000000003A90: D1010006 0001E506
	v_add_f32_e64 v7, v7, 1.0                                  // 000000003A98: D1010007 0001E507
	v_rcp_f32_e32 v4, v4                                       // 000000003AA0: 7E084504
	v_rcp_f32_e32 v5, v5                                       // 000000003AA4: 7E0A4505
	v_rcp_f32_e32 v6, v6                                       // 000000003AA8: 7E0C4506
	v_rcp_f32_e32 v7, v7                                       // 000000003AAC: 7E0E4507
	v_mul_f32_e32 v56, v56, v4                                 // 000000003AB0: 0A700938
	v_mul_f32_e32 v57, v57, v5                                 // 000000003AB4: 0A720B39
	v_mul_f32_e32 v58, v58, v6                                 // 000000003AB8: 0A740D3A
	v_mul_f32_e32 v59, v59, v7                                 // 000000003ABC: 0A760F3B
	v_mul_f32_e32 v56, v56, v72                                // 000000003AC0: 0A709138
	v_mul_f32_e32 v57, v57, v73                                // 000000003AC4: 0A729339
	v_mul_f32_e32 v58, v58, v74                                // 000000003AC8: 0A74953A
	v_mul_f32_e32 v59, v59, v75                                // 000000003ACC: 0A76973B
	s_branch label_04B5                                        // 000000003AD0: BF820080

0000000000003ad4 <label_0435>:
	v_mul_f32_e64 v4, -v44, s6                                 // 000000003AD4: D1050004 20000D2C
	v_mul_f32_e64 v5, -v45, s6                                 // 000000003ADC: D1050005 20000D2D
	v_mul_f32_e64 v6, -v46, s6                                 // 000000003AE4: D1050006 20000D2E
	v_mul_f32_e64 v7, -v47, s6                                 // 000000003AEC: D1050007 20000D2F
	v_exp_f32_e32 v4, v4                                       // 000000003AF4: 7E084104
	v_exp_f32_e32 v5, v5                                       // 000000003AF8: 7E0A4105
	v_exp_f32_e32 v6, v6                                       // 000000003AFC: 7E0C4106
	v_exp_f32_e32 v7, v7                                       // 000000003B00: 7E0E4107
	v_add_f32_e64 v4, v4, 1.0                                  // 000000003B04: D1010004 0001E504
	v_add_f32_e64 v5, v5, 1.0                                  // 000000003B0C: D1010005 0001E505
	v_add_f32_e64 v6, v6, 1.0                                  // 000000003B14: D1010006 0001E506
	v_add_f32_e64 v7, v7, 1.0                                  // 000000003B1C: D1010007 0001E507
	v_rcp_f32_e32 v4, v4                                       // 000000003B24: 7E084504
	v_rcp_f32_e32 v5, v5                                       // 000000003B28: 7E0A4505
	v_rcp_f32_e32 v6, v6                                       // 000000003B2C: 7E0C4506
	v_rcp_f32_e32 v7, v7                                       // 000000003B30: 7E0E4507
	v_mul_f32_e32 v44, v44, v4                                 // 000000003B34: 0A58092C
	v_mul_f32_e32 v45, v45, v5                                 // 000000003B38: 0A5A0B2D
	v_mul_f32_e32 v46, v46, v6                                 // 000000003B3C: 0A5C0D2E
	v_mul_f32_e32 v47, v47, v7                                 // 000000003B40: 0A5E0F2F
	v_mul_f32_e32 v44, v44, v60                                // 000000003B44: 0A58792C
	v_mul_f32_e32 v45, v45, v61                                // 000000003B48: 0A5A7B2D
	v_mul_f32_e32 v46, v46, v62                                // 000000003B4C: 0A5C7D2E
	v_mul_f32_e32 v47, v47, v63                                // 000000003B50: 0A5E7F2F
	v_mul_f32_e64 v4, -v48, s6                                 // 000000003B54: D1050004 20000D30
	v_mul_f32_e64 v5, -v49, s6                                 // 000000003B5C: D1050005 20000D31
	v_mul_f32_e64 v6, -v50, s6                                 // 000000003B64: D1050006 20000D32
	v_mul_f32_e64 v7, -v51, s6                                 // 000000003B6C: D1050007 20000D33
	v_exp_f32_e32 v4, v4                                       // 000000003B74: 7E084104
	v_exp_f32_e32 v5, v5                                       // 000000003B78: 7E0A4105
	v_exp_f32_e32 v6, v6                                       // 000000003B7C: 7E0C4106
	v_exp_f32_e32 v7, v7                                       // 000000003B80: 7E0E4107
	v_add_f32_e64 v4, v4, 1.0                                  // 000000003B84: D1010004 0001E504
	v_add_f32_e64 v5, v5, 1.0                                  // 000000003B8C: D1010005 0001E505
	v_add_f32_e64 v6, v6, 1.0                                  // 000000003B94: D1010006 0001E506
	v_add_f32_e64 v7, v7, 1.0                                  // 000000003B9C: D1010007 0001E507
	v_rcp_f32_e32 v4, v4                                       // 000000003BA4: 7E084504
	v_rcp_f32_e32 v5, v5                                       // 000000003BA8: 7E0A4505
	v_rcp_f32_e32 v6, v6                                       // 000000003BAC: 7E0C4506
	v_rcp_f32_e32 v7, v7                                       // 000000003BB0: 7E0E4507
	v_mul_f32_e32 v48, v48, v4                                 // 000000003BB4: 0A600930
	v_mul_f32_e32 v49, v49, v5                                 // 000000003BB8: 0A620B31
	v_mul_f32_e32 v50, v50, v6                                 // 000000003BBC: 0A640D32
	v_mul_f32_e32 v51, v51, v7                                 // 000000003BC0: 0A660F33
	v_mul_f32_e32 v48, v48, v64                                // 000000003BC4: 0A608130
	v_mul_f32_e32 v49, v49, v65                                // 000000003BC8: 0A628331
	v_mul_f32_e32 v50, v50, v66                                // 000000003BCC: 0A648532
	v_mul_f32_e32 v51, v51, v67                                // 000000003BD0: 0A668733
	v_mul_f32_e64 v4, -v52, s6                                 // 000000003BD4: D1050004 20000D34
	v_mul_f32_e64 v5, -v53, s6                                 // 000000003BDC: D1050005 20000D35
	v_mul_f32_e64 v6, -v54, s6                                 // 000000003BE4: D1050006 20000D36
	v_mul_f32_e64 v7, -v55, s6                                 // 000000003BEC: D1050007 20000D37
	v_exp_f32_e32 v4, v4                                       // 000000003BF4: 7E084104
	v_exp_f32_e32 v5, v5                                       // 000000003BF8: 7E0A4105
	v_exp_f32_e32 v6, v6                                       // 000000003BFC: 7E0C4106
	v_exp_f32_e32 v7, v7                                       // 000000003C00: 7E0E4107
	v_add_f32_e64 v4, v4, 1.0                                  // 000000003C04: D1010004 0001E504
	v_add_f32_e64 v5, v5, 1.0                                  // 000000003C0C: D1010005 0001E505
	v_add_f32_e64 v6, v6, 1.0                                  // 000000003C14: D1010006 0001E506
	v_add_f32_e64 v7, v7, 1.0                                  // 000000003C1C: D1010007 0001E507
	v_rcp_f32_e32 v4, v4                                       // 000000003C24: 7E084504
	v_rcp_f32_e32 v5, v5                                       // 000000003C28: 7E0A4505
	v_rcp_f32_e32 v6, v6                                       // 000000003C2C: 7E0C4506
	v_rcp_f32_e32 v7, v7                                       // 000000003C30: 7E0E4507
	v_mul_f32_e32 v52, v52, v4                                 // 000000003C34: 0A680934
	v_mul_f32_e32 v53, v53, v5                                 // 000000003C38: 0A6A0B35
	v_mul_f32_e32 v54, v54, v6                                 // 000000003C3C: 0A6C0D36
	v_mul_f32_e32 v55, v55, v7                                 // 000000003C40: 0A6E0F37
	v_mul_f32_e32 v52, v52, v68                                // 000000003C44: 0A688934
	v_mul_f32_e32 v53, v53, v69                                // 000000003C48: 0A6A8B35
	v_mul_f32_e32 v54, v54, v70                                // 000000003C4C: 0A6C8D36
	v_mul_f32_e32 v55, v55, v71                                // 000000003C50: 0A6E8F37
	v_mul_f32_e64 v4, -v56, s6                                 // 000000003C54: D1050004 20000D38
	v_mul_f32_e64 v5, -v57, s6                                 // 000000003C5C: D1050005 20000D39
	v_mul_f32_e64 v6, -v58, s6                                 // 000000003C64: D1050006 20000D3A
	v_mul_f32_e64 v7, -v59, s6                                 // 000000003C6C: D1050007 20000D3B
	v_exp_f32_e32 v4, v4                                       // 000000003C74: 7E084104
	v_exp_f32_e32 v5, v5                                       // 000000003C78: 7E0A4105
	v_exp_f32_e32 v6, v6                                       // 000000003C7C: 7E0C4106
	v_exp_f32_e32 v7, v7                                       // 000000003C80: 7E0E4107
	v_add_f32_e64 v4, v4, 1.0                                  // 000000003C84: D1010004 0001E504
	v_add_f32_e64 v5, v5, 1.0                                  // 000000003C8C: D1010005 0001E505
	v_add_f32_e64 v6, v6, 1.0                                  // 000000003C94: D1010006 0001E506
	v_add_f32_e64 v7, v7, 1.0                                  // 000000003C9C: D1010007 0001E507
	v_rcp_f32_e32 v4, v4                                       // 000000003CA4: 7E084504
	v_rcp_f32_e32 v5, v5                                       // 000000003CA8: 7E0A4505
	v_rcp_f32_e32 v6, v6                                       // 000000003CAC: 7E0C4506
	v_rcp_f32_e32 v7, v7                                       // 000000003CB0: 7E0E4507
	v_mul_f32_e32 v56, v56, v4                                 // 000000003CB4: 0A700938
	v_mul_f32_e32 v57, v57, v5                                 // 000000003CB8: 0A720B39
	v_mul_f32_e32 v58, v58, v6                                 // 000000003CBC: 0A740D3A
	v_mul_f32_e32 v59, v59, v7                                 // 000000003CC0: 0A760F3B
	v_mul_f32_e32 v56, v56, v72                                // 000000003CC4: 0A709138
	v_mul_f32_e32 v57, v57, v73                                // 000000003CC8: 0A729339
	v_mul_f32_e32 v58, v58, v74                                // 000000003CCC: 0A74953A
	v_mul_f32_e32 v59, v59, v75                                // 000000003CD0: 0A76973B

0000000000003cd4 <label_04B5>:
	s_cmp_eq_u32 s7, 0                                         // 000000003CD4: BF068007
	s_cbranch_scc0 label_04BF                                  // 000000003CD8: BF840008
	v_and_b32_e32 v4, 15, v0                                   // 000000003CDC: 2608008F
	v_lshlrev_b32_e32 v4, 2, v4                                // 000000003CE0: 24080882
	buffer_load_dword v28, v4, s[12:15], 0 offen               // 000000003CE4: E0501000 80031C04
	v_add_u32_e32 v4, 64, v4                                   // 000000003CEC: 680808C0
	buffer_load_dword v29, v4, s[12:15], 0 offen               // 000000003CF0: E0501000 80031D04
	v_add_u32_e32 v4, 64, v4                                   // 000000003CF8: 680808C0

0000000000003cfc <label_04BF>:
	v_lshlrev_b32_e32 v4, 2, v0                                // 000000003CFC: 24080082
	s_mul_i32 s60, 0x100, s7                                   // 000000003D00: 923C07FF 00000100
	v_add_u32_e32 v62, s60, v4                                 // 000000003D08: 687C083C
	v_and_b32_e32 v4, 15, v0                                   // 000000003D0C: 2608008F
	v_lshlrev_b32_e32 v63, 2, v4                               // 000000003D10: 247E0882
	s_waitcnt lgkmcnt(0)                                       // 000000003D14: BF8CC07F
	s_barrier                                                  // 000000003D18: BF8A0000
	v_mov_b32_e32 v60, 0x358637bd                              // 000000003D1C: 7E7802FF 358637BD
	v_max3_f32 v60, |v44|, |v45|, v60                          // 000000003D24: D1D3033C 04F25B2C
	v_max3_f32 v60, |v46|, |v47|, v60                          // 000000003D2C: D1D3033C 04F25F2E
	v_max3_f32 v60, |v52|, |v53|, v60                          // 000000003D34: D1D3033C 04F26B34
	v_max3_f32 v60, |v54|, |v55|, v60                          // 000000003D3C: D1D3033C 04F26F36
	ds_write_b32 v62, v60                                      // 000000003D44: D81A0000 00003C3E
	s_waitcnt lgkmcnt(0)                                       // 000000003D4C: BF8CC07F
	s_barrier                                                  // 000000003D50: BF8A0000
	ds_read_b32 v4, v63                                        // 000000003D54: D86C0000 0400003F
	ds_read_b32 v5, v63 offset:64                              // 000000003D5C: D86C0040 0500003F
	ds_read_b32 v6, v63 offset:128                             // 000000003D64: D86C0080 0600003F
	ds_read_b32 v7, v63 offset:192                             // 000000003D6C: D86C00C0 0700003F
	ds_read_b32 v8, v63 offset:256                             // 000000003D74: D86C0100 0800003F
	ds_read_b32 v9, v63 offset:320                             // 000000003D7C: D86C0140 0900003F
	ds_read_b32 v10, v63 offset:384                            // 000000003D84: D86C0180 0A00003F
	ds_read_b32 v11, v63 offset:448                            // 000000003D8C: D86C01C0 0B00003F
	ds_read_b32 v12, v63 offset:512                            // 000000003D94: D86C0200 0C00003F
	ds_read_b32 v13, v63 offset:576                            // 000000003D9C: D86C0240 0D00003F
	ds_read_b32 v14, v63 offset:640                            // 000000003DA4: D86C0280 0E00003F
	ds_read_b32 v15, v63 offset:704                            // 000000003DAC: D86C02C0 0F00003F
	ds_read_b32 v16, v63 offset:768                            // 000000003DB4: D86C0300 1000003F
	ds_read_b32 v17, v63 offset:832                            // 000000003DBC: D86C0340 1100003F
	ds_read_b32 v18, v63 offset:896                            // 000000003DC4: D86C0380 1200003F
	ds_read_b32 v19, v63 offset:960                            // 000000003DCC: D86C03C0 1300003F
	s_waitcnt lgkmcnt(0)                                       // 000000003DD4: BF8CC07F
	s_barrier                                                  // 000000003DD8: BF8A0000
	v_max3_f32 v60, |v4|, |v5|, v60                            // 000000003DDC: D1D3033C 04F20B04
	v_max3_f32 v60, |v6|, |v7|, v60                            // 000000003DE4: D1D3033C 04F20F06
	v_max3_f32 v60, |v8|, |v9|, v60                            // 000000003DEC: D1D3033C 04F21308
	v_max3_f32 v60, |v10|, |v11|, v60                          // 000000003DF4: D1D3033C 04F2170A
	v_max3_f32 v60, |v12|, |v13|, v60                          // 000000003DFC: D1D3033C 04F21B0C
	v_max3_f32 v60, |v14|, |v15|, v60                          // 000000003E04: D1D3033C 04F21F0E
	v_max3_f32 v60, |v16|, |v17|, v60                          // 000000003E0C: D1D3033C 04F22310
	v_max3_f32 v60, |v18|, |v19|, v60                          // 000000003E14: D1D3033C 04F22712
	v_rcp_f32_e32 v60, v60                                     // 000000003E1C: 7E78453C
	v_mov_b32_e32 v4, 0x43700000                               // 000000003E20: 7E0802FF 43700000
	v_mul_f32_e32 v60, v4, v60                                 // 000000003E28: 0A787904
	v_mov_b32_e32 v4, v60                                      // 000000003E2C: 7E08033C
	v_mov_b32_e32 v5, v4                                       // 000000003E30: 7E0A0304
	v_pk_mul_f32 v[44:45], v[4:5], v[44:45]                    // 000000003E34: D3B1402C 18025904
	v_pk_mul_f32 v[46:47], v[4:5], v[46:47]                    // 000000003E3C: D3B1402E 18025D04
	v_cvt_pk_fp8_f32 v44, v44, v45                             // 000000003E44: D2A2002C 00025B2C
	v_cvt_pk_fp8_f32 v44, v46, v47 op_sel:[0,0,1]              // 000000003E4C: D2A2402C 00025F2E
	v_pk_mul_f32 v[52:53], v[4:5], v[52:53]                    // 000000003E54: D3B14034 18026904
	v_pk_mul_f32 v[54:55], v[4:5], v[54:55]                    // 000000003E5C: D3B14036 18026D04
	v_cvt_pk_fp8_f32 v52, v52, v53                             // 000000003E64: D2A20034 00026B34
	v_cvt_pk_fp8_f32 v52, v54, v55 op_sel:[0,0,1]              // 000000003E6C: D2A24034 00026F36
	v_rcp_f32_e32 v60, v60                                     // 000000003E74: 7E78453C
	v_mov_b32_e32 v61, 0x358637bd                              // 000000003E78: 7E7A02FF 358637BD
	v_max3_f32 v61, |v48|, |v49|, v61                          // 000000003E80: D1D3033D 04F66330
	v_max3_f32 v61, |v50|, |v51|, v61                          // 000000003E88: D1D3033D 04F66732
	v_max3_f32 v61, |v56|, |v57|, v61                          // 000000003E90: D1D3033D 04F67338
	v_max3_f32 v61, |v58|, |v59|, v61                          // 000000003E98: D1D3033D 04F6773A
	ds_write_b32 v62, v61                                      // 000000003EA0: D81A0000 00003D3E
	s_waitcnt lgkmcnt(0)                                       // 000000003EA8: BF8CC07F
	s_barrier                                                  // 000000003EAC: BF8A0000
	ds_read_b32 v4, v63                                        // 000000003EB0: D86C0000 0400003F
	ds_read_b32 v5, v63 offset:64                              // 000000003EB8: D86C0040 0500003F
	ds_read_b32 v6, v63 offset:128                             // 000000003EC0: D86C0080 0600003F
	ds_read_b32 v7, v63 offset:192                             // 000000003EC8: D86C00C0 0700003F
	ds_read_b32 v8, v63 offset:256                             // 000000003ED0: D86C0100 0800003F
	ds_read_b32 v9, v63 offset:320                             // 000000003ED8: D86C0140 0900003F
	ds_read_b32 v10, v63 offset:384                            // 000000003EE0: D86C0180 0A00003F
	ds_read_b32 v11, v63 offset:448                            // 000000003EE8: D86C01C0 0B00003F
	ds_read_b32 v12, v63 offset:512                            // 000000003EF0: D86C0200 0C00003F
	ds_read_b32 v13, v63 offset:576                            // 000000003EF8: D86C0240 0D00003F
	ds_read_b32 v14, v63 offset:640                            // 000000003F00: D86C0280 0E00003F
	ds_read_b32 v15, v63 offset:704                            // 000000003F08: D86C02C0 0F00003F
	ds_read_b32 v16, v63 offset:768                            // 000000003F10: D86C0300 1000003F
	ds_read_b32 v17, v63 offset:832                            // 000000003F18: D86C0340 1100003F
	ds_read_b32 v18, v63 offset:896                            // 000000003F20: D86C0380 1200003F
	ds_read_b32 v19, v63 offset:960                            // 000000003F28: D86C03C0 1300003F
	s_waitcnt lgkmcnt(0)                                       // 000000003F30: BF8CC07F
	s_barrier                                                  // 000000003F34: BF8A0000
	v_max3_f32 v61, |v4|, |v5|, v61                            // 000000003F38: D1D3033D 04F60B04
	v_max3_f32 v61, |v6|, |v7|, v61                            // 000000003F40: D1D3033D 04F60F06
	v_max3_f32 v61, |v8|, |v9|, v61                            // 000000003F48: D1D3033D 04F61308
	v_max3_f32 v61, |v10|, |v11|, v61                          // 000000003F50: D1D3033D 04F6170A
	v_max3_f32 v61, |v12|, |v13|, v61                          // 000000003F58: D1D3033D 04F61B0C
	v_max3_f32 v61, |v14|, |v15|, v61                          // 000000003F60: D1D3033D 04F61F0E
	v_max3_f32 v61, |v16|, |v17|, v61                          // 000000003F68: D1D3033D 04F62310
	v_max3_f32 v61, |v18|, |v19|, v61                          // 000000003F70: D1D3033D 04F62712
	v_rcp_f32_e32 v61, v61                                     // 000000003F78: 7E7A453D
	v_mov_b32_e32 v4, 0x43700000                               // 000000003F7C: 7E0802FF 43700000
	v_mul_f32_e32 v61, v4, v61                                 // 000000003F84: 0A7A7B04
	v_mov_b32_e32 v4, v61                                      // 000000003F88: 7E08033D
	v_mov_b32_e32 v5, v4                                       // 000000003F8C: 7E0A0304
	v_pk_mul_f32 v[48:49], v[4:5], v[48:49]                    // 000000003F90: D3B14030 18026104
	v_pk_mul_f32 v[50:51], v[4:5], v[50:51]                    // 000000003F98: D3B14032 18026504
	v_cvt_pk_fp8_f32 v48, v48, v49                             // 000000003FA0: D2A20030 00026330
	v_cvt_pk_fp8_f32 v48, v50, v51 op_sel:[0,0,1]              // 000000003FA8: D2A24030 00026732
	v_pk_mul_f32 v[56:57], v[4:5], v[56:57]                    // 000000003FB0: D3B14038 18027104
	v_pk_mul_f32 v[58:59], v[4:5], v[58:59]                    // 000000003FB8: D3B1403A 18027504
	v_cvt_pk_fp8_f32 v56, v56, v57                             // 000000003FC0: D2A20038 00027338
	v_cvt_pk_fp8_f32 v56, v58, v59 op_sel:[0,0,1]              // 000000003FC8: D2A24038 0002773A
	v_rcp_f32_e32 v61, v61                                     // 000000003FD0: 7E7A453D
	v_lshrrev_b32_e32 v4, 5, v0                                // 000000003FD4: 20080085
	v_mul_lo_u32 v20, 34, v4                                   // 000000003FD8: D2850014 000208A2
	v_and_b32_e32 v4, 31, v0                                   // 000000003FE0: 2608009F
	v_lshrrev_b32_e32 v5, 4, v4                                // 000000003FE4: 200A0884
	v_add_u32_e32 v20, v5, v20                                 // 000000003FE8: 68282905
	v_and_b32_e32 v4, 15, v0                                   // 000000003FEC: 2608008F
	v_mul_lo_u32 v5, 2, v4                                     // 000000003FF0: D2850005 00020882
	v_add_u32_e32 v20, v5, v20                                 // 000000003FF8: 68282905
	s_mul_i32 s60, s7, 0x44                                    // 000000003FFC: 923CFF07 00000044
	v_add_u32_e32 v20, s60, v20                                // 000000004004: 6828283C
	v_lshlrev_b32_e32 v20, 2, v20                              // 000000004008: 24282882
	ds_write_b32 v20, v44                                      // 00000000400C: D81A0000 00002C14
	ds_write_b32 v20, v48 offset:2176                          // 000000004014: D81A0880 00003014
	ds_write_b32 v20, v52 offset:1088                          // 00000000401C: D81A0440 00003414
	ds_write_b32 v20, v56 offset:3264                          // 000000004024: D81A0CC0 00003814
	v_lshrrev_b32_e32 v4, 5, v0                                // 00000000402C: 20080085
	v_xor_b32_e32 v5, 1, v4                                    // 000000004030: 2A0A0881
	s_mul_i32 s60, s65, 1                                      // 000000004034: 923C8141
	s_cmp_eq_u32 s88, 0                                        // 000000004038: BF068058
	s_cselect_b32 s61, 1, 8                                    // 00000000403C: 853D8881
	s_mul_i32 s60, s61, s60                                    // 000000004040: 923C3C3D
	v_readlane_b32 s82, v3, 0                                  // 000000004044: D2890052 00010103
	s_lshr_b32 s61, s82, 24                                    // 00000000404C: 8F3D9852
	s_and_b32 s82, s82, 0xffffff                               // 000000004050: 8652FF52 00FFFFFF
	s_mul_i32 s82, s82, s71                                    // 000000004058: 92524752
	s_mul_i32 s61, s60, s61                                    // 00000000405C: 923D3D3C
	s_add_u32 s82, s82, s61                                    // 000000004060: 80523D52
	v_mul_lo_u32 v6, v5, s82                                   // 000000004064: D2850006 0000A505
	v_readlane_b32 s82, v3, 1                                  // 00000000406C: D2890052 00010303
	s_lshr_b32 s61, s82, 24                                    // 000000004074: 8F3D9852
	s_and_b32 s82, s82, 0xffffff                               // 000000004078: 8652FF52 00FFFFFF
	s_mul_i32 s82, s82, s71                                    // 000000004080: 92524752
	s_mul_i32 s61, s60, s61                                    // 000000004084: 923D3D3C
	s_add_u32 s82, s82, s61                                    // 000000004088: 80523D52
	v_mul_lo_u32 v7, v4, s82                                   // 00000000408C: D2850007 0000A504
	v_add_u32_e32 v36, v6, v7                                  // 000000004094: 68480F06
	v_readlane_b32 s82, v3, 2                                  // 000000004098: D2890052 00010503
	s_lshr_b32 s61, s82, 24                                    // 0000000040A0: 8F3D9852
	s_and_b32 s82, s82, 0xffffff                               // 0000000040A4: 8652FF52 00FFFFFF
	s_mul_i32 s82, s82, s71                                    // 0000000040AC: 92524752
	s_mul_i32 s61, s60, s61                                    // 0000000040B0: 923D3D3C
	s_add_u32 s82, s82, s61                                    // 0000000040B4: 80523D52
	v_mul_lo_u32 v6, v5, s82                                   // 0000000040B8: D2850006 0000A505
	v_readlane_b32 s82, v3, 3                                  // 0000000040C0: D2890052 00010703
	s_lshr_b32 s61, s82, 24                                    // 0000000040C8: 8F3D9852
	s_and_b32 s82, s82, 0xffffff                               // 0000000040CC: 8652FF52 00FFFFFF
	s_mul_i32 s82, s82, s71                                    // 0000000040D4: 92524752
	s_mul_i32 s61, s60, s61                                    // 0000000040D8: 923D3D3C
	s_add_u32 s82, s82, s61                                    // 0000000040DC: 80523D52
	v_mul_lo_u32 v7, v4, s82                                   // 0000000040E0: D2850007 0000A504
	v_add_u32_e32 v37, v6, v7                                  // 0000000040E8: 684A0F06
	v_readlane_b32 s82, v3, 4                                  // 0000000040EC: D2890052 00010903
	s_lshr_b32 s61, s82, 24                                    // 0000000040F4: 8F3D9852
	s_and_b32 s82, s82, 0xffffff                               // 0000000040F8: 8652FF52 00FFFFFF
	s_mul_i32 s82, s82, s71                                    // 000000004100: 92524752
	s_mul_i32 s61, s60, s61                                    // 000000004104: 923D3D3C
	s_add_u32 s82, s82, s61                                    // 000000004108: 80523D52
	v_mul_lo_u32 v6, v5, s82                                   // 00000000410C: D2850006 0000A505
	v_readlane_b32 s82, v3, 5                                  // 000000004114: D2890052 00010B03
	s_lshr_b32 s61, s82, 24                                    // 00000000411C: 8F3D9852
	s_and_b32 s82, s82, 0xffffff                               // 000000004120: 8652FF52 00FFFFFF
	s_mul_i32 s82, s82, s71                                    // 000000004128: 92524752
	s_mul_i32 s61, s60, s61                                    // 00000000412C: 923D3D3C
	s_add_u32 s82, s82, s61                                    // 000000004130: 80523D52
	v_mul_lo_u32 v7, v4, s82                                   // 000000004134: D2850007 0000A504
	v_add_u32_e32 v38, v6, v7                                  // 00000000413C: 684C0F06
	v_readlane_b32 s82, v3, 6                                  // 000000004140: D2890052 00010D03
	s_lshr_b32 s61, s82, 24                                    // 000000004148: 8F3D9852
	s_and_b32 s82, s82, 0xffffff                               // 00000000414C: 8652FF52 00FFFFFF
	s_mul_i32 s82, s82, s71                                    // 000000004154: 92524752
	s_mul_i32 s61, s60, s61                                    // 000000004158: 923D3D3C
	s_add_u32 s82, s82, s61                                    // 00000000415C: 80523D52
	v_mul_lo_u32 v6, v5, s82                                   // 000000004160: D2850006 0000A505
	v_readlane_b32 s82, v3, 7                                  // 000000004168: D2890052 00010F03
	s_lshr_b32 s61, s82, 24                                    // 000000004170: 8F3D9852
	s_and_b32 s82, s82, 0xffffff                               // 000000004174: 8652FF52 00FFFFFF
	s_mul_i32 s82, s82, s71                                    // 00000000417C: 92524752
	s_mul_i32 s61, s60, s61                                    // 000000004180: 923D3D3C
	s_add_u32 s82, s82, s61                                    // 000000004184: 80523D52
	v_mul_lo_u32 v7, v4, s82                                   // 000000004188: D2850007 0000A504
	v_add_u32_e32 v39, v6, v7                                  // 000000004190: 684E0F06
	v_and_b32_e32 v4, 31, v0                                   // 000000004194: 2608009F
	v_lshrrev_b32_e32 v4, 1, v4                                // 000000004198: 20080881
	s_cmp_eq_u32 s88, 0                                        // 00000000419C: BF068058
	s_cselect_b32 s61, 2, 4                                    // 0000000041A0: 853D8482
	v_mul_lo_u32 v4, v4, s61                                   // 0000000041A4: D2850004 00007B04
	v_and_b32_e64 v5, v0, 1                                    // 0000000041AC: D1130005 00010300
	v_add_u32_e32 v4, v4, v5                                   // 0000000041B4: 68080B04
	v_lshlrev_b32_e32 v4, 2, v4                                // 0000000041B8: 24080882
	v_add_u32_e32 v36, v36, v4                                 // 0000000041BC: 68480924
	v_add_u32_e32 v37, v37, v4                                 // 0000000041C0: 684A0925
	v_add_u32_e32 v38, v38, v4                                 // 0000000041C4: 684C0926
	v_add_u32_e32 v39, v39, v4                                 // 0000000041C8: 684E0927
	s_waitcnt lgkmcnt(0)                                       // 0000000041CC: BF8CC07F
	s_barrier                                                  // 0000000041D0: BF8A0000
	ds_read_b32 v44, v21                                       // 0000000041D4: D86C0000 2C000015
	ds_read_b32 v45, v21 offset:64                             // 0000000041DC: D86C0040 2D000015
	ds_read_b32 v46, v21 offset:2176                           // 0000000041E4: D86C0880 2E000015
	ds_read_b32 v47, v21 offset:2240                           // 0000000041EC: D86C08C0 2F000015
	s_waitcnt lgkmcnt(0)                                       // 0000000041F4: BF8CC07F
	s_mov_b32 s36, -1                                          // 0000000041F8: BEA400C1
	s_mov_b32 s37, -1                                          // 0000000041FC: BEA500C1
	v_mov_b32_e32 v7, 0                                        // 000000004200: 7E0E0280
	s_or_b32 s9, s9, 0x40000                                   // 000000004204: 8709FF09 00040000
	s_mov_b64 exec, s[36:37]                                   // 00000000420C: BEFE0124
	v_mov_b32_e32 v6, v36                                      // 000000004210: 7E0C0324
	s_mov_b64 s[60:61], 0                                      // 000000004214: BEBC0180
	v_readlane_b32 s82, v3, 0                                  // 000000004218: D2890052 00010103
	s_and_b32 s82, s82, 0xffffff                               // 000000004220: 8652FF52 00FFFFFF
	s_cmp_lt_u32 s82, s66                                      // 000000004228: BF0A4252
	s_cselect_b32 s20, s36, s60                                // 00000000422C: 85143C24
	v_readlane_b32 s82, v3, 1                                  // 000000004230: D2890052 00010303
	s_and_b32 s82, s82, 0xffffff                               // 000000004238: 8652FF52 00FFFFFF
	s_cmp_lt_u32 s82, s66                                      // 000000004240: BF0A4252
	s_cselect_b32 s21, s36, s60                                // 000000004244: 85153C24
	s_mov_b64 exec, s[20:21]                                   // 000000004248: BEFE0114
	buffer_store_dword v44, v6, s[8:11], 0 offen               // 00000000424C: E0701000 80022C06
	s_mov_b64 exec, s[36:37]                                   // 000000004254: BEFE0124
	v_mov_b32_e32 v6, v37                                      // 000000004258: 7E0C0325
	s_mov_b64 s[60:61], 0                                      // 00000000425C: BEBC0180
	v_readlane_b32 s82, v3, 2                                  // 000000004260: D2890052 00010503
	s_and_b32 s82, s82, 0xffffff                               // 000000004268: 8652FF52 00FFFFFF
	s_cmp_lt_u32 s82, s66                                      // 000000004270: BF0A4252
	s_cselect_b32 s20, s36, s60                                // 000000004274: 85143C24
	v_readlane_b32 s82, v3, 3                                  // 000000004278: D2890052 00010703
	s_and_b32 s82, s82, 0xffffff                               // 000000004280: 8652FF52 00FFFFFF
	s_cmp_lt_u32 s82, s66                                      // 000000004288: BF0A4252
	s_cselect_b32 s21, s36, s60                                // 00000000428C: 85153C24
	s_mov_b64 exec, s[20:21]                                   // 000000004290: BEFE0114
	buffer_store_dword v45, v6, s[8:11], 0 offen               // 000000004294: E0701000 80022D06
	s_mov_b64 exec, s[36:37]                                   // 00000000429C: BEFE0124
	v_mov_b32_e32 v6, v38                                      // 0000000042A0: 7E0C0326
	s_mov_b64 s[60:61], 0                                      // 0000000042A4: BEBC0180
	v_readlane_b32 s82, v3, 4                                  // 0000000042A8: D2890052 00010903
	s_and_b32 s82, s82, 0xffffff                               // 0000000042B0: 8652FF52 00FFFFFF
	s_cmp_lt_u32 s82, s66                                      // 0000000042B8: BF0A4252
	s_cselect_b32 s20, s36, s60                                // 0000000042BC: 85143C24
	v_readlane_b32 s82, v3, 5                                  // 0000000042C0: D2890052 00010B03
	s_and_b32 s82, s82, 0xffffff                               // 0000000042C8: 8652FF52 00FFFFFF
	s_cmp_lt_u32 s82, s66                                      // 0000000042D0: BF0A4252
	s_cselect_b32 s21, s36, s60                                // 0000000042D4: 85153C24
	s_mov_b64 exec, s[20:21]                                   // 0000000042D8: BEFE0114
	buffer_store_dword v46, v6, s[8:11], 0 offen               // 0000000042DC: E0701000 80022E06
	s_mov_b64 exec, s[36:37]                                   // 0000000042E4: BEFE0124
	v_mov_b32_e32 v6, v39                                      // 0000000042E8: 7E0C0327
	s_mov_b64 s[60:61], 0                                      // 0000000042EC: BEBC0180
	v_readlane_b32 s82, v3, 6                                  // 0000000042F0: D2890052 00010D03
	s_and_b32 s82, s82, 0xffffff                               // 0000000042F8: 8652FF52 00FFFFFF
	s_cmp_lt_u32 s82, s66                                      // 000000004300: BF0A4252
	s_cselect_b32 s20, s36, s60                                // 000000004304: 85143C24
	v_readlane_b32 s82, v3, 7                                  // 000000004308: D2890052 00010F03
	s_and_b32 s82, s82, 0xffffff                               // 000000004310: 8652FF52 00FFFFFF
	s_cmp_lt_u32 s82, s66                                      // 000000004318: BF0A4252
	s_cselect_b32 s21, s36, s60                                // 00000000431C: 85153C24
	s_mov_b64 exec, s[20:21]                                   // 000000004320: BEFE0114
	buffer_store_dword v47, v6, s[8:11], 0 offen               // 000000004324: E0701000 80022F06
	s_mov_b64 exec, s[36:37]                                   // 00000000432C: BEFE0124
	s_cmp_eq_u32 s7, 0                                         // 000000004330: BF068007
	s_cbranch_scc0 label_0F5A                                  // 000000004334: BF840909
	s_waitcnt vmcnt(4)                                         // 000000004338: BF8C0F74
	s_mov_b32 s8, s90                                          // 00000000433C: BE88005A
	s_mov_b32 s9, s91                                          // 000000004340: BE89005B
	s_mul_i32 s60, s66, s71                                    // 000000004344: 923C4742
	s_add_u32 s8, s60, s8                                      // 000000004348: 8008083C
	s_addc_u32 s9, 0, s9                                       // 00000000434C: 82090980
	s_lshr_b32 s71, s71, 5                                     // 000000004350: 8F478547
	s_mul_i32 s60, s66, s71                                    // 000000004354: 923C4742
	s_mov_b32 s10, s60                                         // 000000004358: BE8A003C
	s_lshr_b32 s61, s65, 5                                     // 00000000435C: 8F3D8541
	s_mul_i32 s60, s2, 4                                       // 000000004360: 923C8402
	v_lshrrev_b32_e32 v4, 24, v28                              // 000000004364: 20083898
	v_mul_lo_u32 v4, s61, v4                                   // 000000004368: D2850004 0002083D
	v_and_b32_e32 v28, 0xffffff, v28                           // 000000004370: 263838FF 00FFFFFF
	v_mul_lo_u32 v28, s71, v28                                 // 000000004378: D285001C 00023847
	v_add_u32_e32 v28, v4, v28                                 // 000000004380: 68383904
	v_add_u32_e32 v28, s60, v28                                // 000000004384: 6838383C
	v_lshrrev_b32_e32 v4, 24, v29                              // 000000004388: 20083A98
	v_mul_lo_u32 v4, s61, v4                                   // 00000000438C: D2850004 0002083D
	v_and_b32_e32 v29, 0xffffff, v29                           // 000000004394: 263A3AFF 00FFFFFF
	v_mul_lo_u32 v29, s71, v29                                 // 00000000439C: D285001D 00023A47
	v_add_u32_e32 v29, v4, v29                                 // 0000000043A4: 683A3B04
	v_add_u32_e32 v29, s60, v29                                // 0000000043A8: 683A3A3C
	s_mov_b64 exec, 0xffff                                     // 0000000043AC: BEFE01FF 0000FFFF
	buffer_store_dword v60, v28, s[8:11], 0 offen              // 0000000043B4: E0701000 80023C1C
	buffer_store_dword v61, v29, s[8:11], 0 offen              // 0000000043BC: E0701000 80023D1D
	s_mov_b64 exec, s[36:37]                                   // 0000000043C4: BEFE0124
	s_branch label_0F5A                                        // 0000000043C8: BF8208E4

00000000000043cc <label_0673>:
	ds_write_b64 v20, v[44:45]                                 // 0000000043CC: D89A0000 00002C14
	ds_write_b64 v20, v[48:49] offset:4352                     // 0000000043D4: D89A1100 00003014
	ds_write_b64 v20, v[52:53] offset:2176                     // 0000000043DC: D89A0880 00003414
	ds_write_b64 v20, v[56:57] offset:6528                     // 0000000043E4: D89A1980 00003814
	v_lshrrev_b32_e32 v4, 5, v0                                // 0000000043EC: 20080085
	v_xor_b32_e32 v5, 1, v4                                    // 0000000043F0: 2A0A0881
	s_mul_i32 s60, s65, 1                                      // 0000000043F4: 923C8141
	s_cmp_eq_u32 s88, 0                                        // 0000000043F8: BF068058
	s_cselect_b32 s61, 1, 8                                    // 0000000043FC: 853D8881
	s_mul_i32 s60, s61, s60                                    // 000000004400: 923C3C3D
	v_readlane_b32 s82, v3, 0                                  // 000000004404: D2890052 00010103
	s_lshr_b32 s61, s82, 24                                    // 00000000440C: 8F3D9852
	s_and_b32 s82, s82, 0xffffff                               // 000000004410: 8652FF52 00FFFFFF
	s_mul_i32 s82, s82, s71                                    // 000000004418: 92524752
	s_mul_i32 s61, s60, s61                                    // 00000000441C: 923D3D3C
	s_add_u32 s82, s82, s61                                    // 000000004420: 80523D52
	v_mul_lo_u32 v6, v5, s82                                   // 000000004424: D2850006 0000A505
	v_readlane_b32 s82, v3, 1                                  // 00000000442C: D2890052 00010303
	s_lshr_b32 s61, s82, 24                                    // 000000004434: 8F3D9852
	s_and_b32 s82, s82, 0xffffff                               // 000000004438: 8652FF52 00FFFFFF
	s_mul_i32 s82, s82, s71                                    // 000000004440: 92524752
	s_mul_i32 s61, s60, s61                                    // 000000004444: 923D3D3C
	s_add_u32 s82, s82, s61                                    // 000000004448: 80523D52
	v_mul_lo_u32 v7, v4, s82                                   // 00000000444C: D2850007 0000A504
	v_add_u32_e32 v36, v6, v7                                  // 000000004454: 68480F06
	v_readlane_b32 s82, v3, 2                                  // 000000004458: D2890052 00010503
	s_lshr_b32 s61, s82, 24                                    // 000000004460: 8F3D9852
	s_and_b32 s82, s82, 0xffffff                               // 000000004464: 8652FF52 00FFFFFF
	s_mul_i32 s82, s82, s71                                    // 00000000446C: 92524752
	s_mul_i32 s61, s60, s61                                    // 000000004470: 923D3D3C
	s_add_u32 s82, s82, s61                                    // 000000004474: 80523D52
	v_mul_lo_u32 v6, v5, s82                                   // 000000004478: D2850006 0000A505
	v_readlane_b32 s82, v3, 3                                  // 000000004480: D2890052 00010703
	s_lshr_b32 s61, s82, 24                                    // 000000004488: 8F3D9852
	s_and_b32 s82, s82, 0xffffff                               // 00000000448C: 8652FF52 00FFFFFF
	s_mul_i32 s82, s82, s71                                    // 000000004494: 92524752
	s_mul_i32 s61, s60, s61                                    // 000000004498: 923D3D3C
	s_add_u32 s82, s82, s61                                    // 00000000449C: 80523D52
	v_mul_lo_u32 v7, v4, s82                                   // 0000000044A0: D2850007 0000A504
	v_add_u32_e32 v37, v6, v7                                  // 0000000044A8: 684A0F06
	v_readlane_b32 s82, v3, 4                                  // 0000000044AC: D2890052 00010903
	s_lshr_b32 s61, s82, 24                                    // 0000000044B4: 8F3D9852
	s_and_b32 s82, s82, 0xffffff                               // 0000000044B8: 8652FF52 00FFFFFF
	s_mul_i32 s82, s82, s71                                    // 0000000044C0: 92524752
	s_mul_i32 s61, s60, s61                                    // 0000000044C4: 923D3D3C
	s_add_u32 s82, s82, s61                                    // 0000000044C8: 80523D52
	v_mul_lo_u32 v6, v5, s82                                   // 0000000044CC: D2850006 0000A505
	v_readlane_b32 s82, v3, 5                                  // 0000000044D4: D2890052 00010B03
	s_lshr_b32 s61, s82, 24                                    // 0000000044DC: 8F3D9852
	s_and_b32 s82, s82, 0xffffff                               // 0000000044E0: 8652FF52 00FFFFFF
	s_mul_i32 s82, s82, s71                                    // 0000000044E8: 92524752
	s_mul_i32 s61, s60, s61                                    // 0000000044EC: 923D3D3C
	s_add_u32 s82, s82, s61                                    // 0000000044F0: 80523D52
	v_mul_lo_u32 v7, v4, s82                                   // 0000000044F4: D2850007 0000A504
	v_add_u32_e32 v38, v6, v7                                  // 0000000044FC: 684C0F06
	v_readlane_b32 s82, v3, 6                                  // 000000004500: D2890052 00010D03
	s_lshr_b32 s61, s82, 24                                    // 000000004508: 8F3D9852
	s_and_b32 s82, s82, 0xffffff                               // 00000000450C: 8652FF52 00FFFFFF
	s_mul_i32 s82, s82, s71                                    // 000000004514: 92524752
	s_mul_i32 s61, s60, s61                                    // 000000004518: 923D3D3C
	s_add_u32 s82, s82, s61                                    // 00000000451C: 80523D52
	v_mul_lo_u32 v6, v5, s82                                   // 000000004520: D2850006 0000A505
	v_readlane_b32 s82, v3, 7                                  // 000000004528: D2890052 00010F03
	s_lshr_b32 s61, s82, 24                                    // 000000004530: 8F3D9852
	s_and_b32 s82, s82, 0xffffff                               // 000000004534: 8652FF52 00FFFFFF
	s_mul_i32 s82, s82, s71                                    // 00000000453C: 92524752
	s_mul_i32 s61, s60, s61                                    // 000000004540: 923D3D3C
	s_add_u32 s82, s82, s61                                    // 000000004544: 80523D52
	v_mul_lo_u32 v7, v4, s82                                   // 000000004548: D2850007 0000A504
	v_add_u32_e32 v39, v6, v7                                  // 000000004550: 684E0F06
	v_and_b32_e32 v4, 31, v0                                   // 000000004554: 2608009F
	v_lshrrev_b32_e32 v4, 1, v4                                // 000000004558: 20080881
	s_cmp_eq_u32 s88, 0                                        // 00000000455C: BF068058
	s_cselect_b32 s61, 2, 4                                    // 000000004560: 853D8482
	v_mul_lo_u32 v4, v4, s61                                   // 000000004564: D2850004 00007B04
	v_and_b32_e64 v5, v0, 1                                    // 00000000456C: D1130005 00010300
	v_add_u32_e32 v4, v4, v5                                   // 000000004574: 68080B04
	v_lshlrev_b32_e32 v4, 2, v4                                // 000000004578: 24080882
	v_add_u32_e32 v36, v36, v4                                 // 00000000457C: 68480924
	v_add_u32_e32 v37, v37, v4                                 // 000000004580: 684A0925
	v_add_u32_e32 v38, v38, v4                                 // 000000004584: 684C0926
	v_add_u32_e32 v39, v39, v4                                 // 000000004588: 684E0927
	s_waitcnt lgkmcnt(0)                                       // 00000000458C: BF8CC07F
	s_barrier                                                  // 000000004590: BF8A0000
	ds_read_b32 v44, v21                                       // 000000004594: D86C0000 2C000015
	ds_read_b32 v45, v21 offset:64                             // 00000000459C: D86C0040 2D000015
	ds_read_b32 v48, v21 offset:2176                           // 0000000045A4: D86C0880 30000015
	ds_read_b32 v49, v21 offset:2240                           // 0000000045AC: D86C08C0 31000015
	ds_read_b32 v52, v21 offset:4352                           // 0000000045B4: D86C1100 34000015
	ds_read_b32 v53, v21 offset:4416                           // 0000000045BC: D86C1140 35000015
	ds_read_b32 v56, v21 offset:6528                           // 0000000045C4: D86C1980 38000015
	ds_read_b32 v57, v21 offset:6592                           // 0000000045CC: D86C19C0 39000015
	s_waitcnt lgkmcnt(0)                                       // 0000000045D4: BF8CC07F
	s_mov_b32 s36, -1                                          // 0000000045D8: BEA400C1
	s_mov_b32 s37, -1                                          // 0000000045DC: BEA500C1
	v_mov_b32_e32 v7, 0                                        // 0000000045E0: 7E0E0280
	s_mov_b64 exec, s[36:37]                                   // 0000000045E4: BEFE0124
	v_mov_b32_e32 v6, v36                                      // 0000000045E8: 7E0C0324
	s_mov_b64 s[60:61], 0                                      // 0000000045EC: BEBC0180
	v_readlane_b32 s82, v3, 0                                  // 0000000045F0: D2890052 00010103
	s_and_b32 s82, s82, 0xffffff                               // 0000000045F8: 8652FF52 00FFFFFF
	s_cmp_lt_u32 s82, s66                                      // 000000004600: BF0A4252
	s_cselect_b32 s20, s36, s60                                // 000000004604: 85143C24
	v_readlane_b32 s82, v3, 1                                  // 000000004608: D2890052 00010303
	s_and_b32 s82, s82, 0xffffff                               // 000000004610: 8652FF52 00FFFFFF
	s_cmp_lt_u32 s82, s66                                      // 000000004618: BF0A4252
	s_cselect_b32 s21, s36, s60                                // 00000000461C: 85153C24
	s_mov_b64 exec, s[20:21]                                   // 000000004620: BEFE0114
	global_atomic_add_f32 v6, v44, s[8:9]                      // 000000004624: DD348000 00082C06
	global_atomic_add_f32 v6, v48, s[8:9] offset:256           // 00000000462C: DD348100 00083006
	s_mov_b64 exec, s[36:37]                                   // 000000004634: BEFE0124
	v_mov_b32_e32 v6, v37                                      // 000000004638: 7E0C0325
	s_mov_b64 s[60:61], 0                                      // 00000000463C: BEBC0180
	v_readlane_b32 s82, v3, 2                                  // 000000004640: D2890052 00010503
	s_and_b32 s82, s82, 0xffffff                               // 000000004648: 8652FF52 00FFFFFF
	s_cmp_lt_u32 s82, s66                                      // 000000004650: BF0A4252
	s_cselect_b32 s20, s36, s60                                // 000000004654: 85143C24
	v_readlane_b32 s82, v3, 3                                  // 000000004658: D2890052 00010703
	s_and_b32 s82, s82, 0xffffff                               // 000000004660: 8652FF52 00FFFFFF
	s_cmp_lt_u32 s82, s66                                      // 000000004668: BF0A4252
	s_cselect_b32 s21, s36, s60                                // 00000000466C: 85153C24
	s_mov_b64 exec, s[20:21]                                   // 000000004670: BEFE0114
	global_atomic_add_f32 v6, v45, s[8:9]                      // 000000004674: DD348000 00082D06
	global_atomic_add_f32 v6, v49, s[8:9] offset:256           // 00000000467C: DD348100 00083106
	s_mov_b64 exec, s[36:37]                                   // 000000004684: BEFE0124
	v_mov_b32_e32 v6, v38                                      // 000000004688: 7E0C0326
	s_mov_b64 s[60:61], 0                                      // 00000000468C: BEBC0180
	v_readlane_b32 s82, v3, 4                                  // 000000004690: D2890052 00010903
	s_and_b32 s82, s82, 0xffffff                               // 000000004698: 8652FF52 00FFFFFF
	s_cmp_lt_u32 s82, s66                                      // 0000000046A0: BF0A4252
	s_cselect_b32 s20, s36, s60                                // 0000000046A4: 85143C24
	v_readlane_b32 s82, v3, 5                                  // 0000000046A8: D2890052 00010B03
	s_and_b32 s82, s82, 0xffffff                               // 0000000046B0: 8652FF52 00FFFFFF
	s_cmp_lt_u32 s82, s66                                      // 0000000046B8: BF0A4252
	s_cselect_b32 s21, s36, s60                                // 0000000046BC: 85153C24
	s_mov_b64 exec, s[20:21]                                   // 0000000046C0: BEFE0114
	global_atomic_add_f32 v6, v52, s[8:9]                      // 0000000046C4: DD348000 00083406
	global_atomic_add_f32 v6, v56, s[8:9] offset:256           // 0000000046CC: DD348100 00083806
	s_mov_b64 exec, s[36:37]                                   // 0000000046D4: BEFE0124
	v_mov_b32_e32 v6, v39                                      // 0000000046D8: 7E0C0327
	s_mov_b64 s[60:61], 0                                      // 0000000046DC: BEBC0180
	v_readlane_b32 s82, v3, 6                                  // 0000000046E0: D2890052 00010D03
	s_and_b32 s82, s82, 0xffffff                               // 0000000046E8: 8652FF52 00FFFFFF
	s_cmp_lt_u32 s82, s66                                      // 0000000046F0: BF0A4252
	s_cselect_b32 s20, s36, s60                                // 0000000046F4: 85143C24
	v_readlane_b32 s82, v3, 7                                  // 0000000046F8: D2890052 00010F03
	s_and_b32 s82, s82, 0xffffff                               // 000000004700: 8652FF52 00FFFFFF
	s_cmp_lt_u32 s82, s66                                      // 000000004708: BF0A4252
	s_cselect_b32 s21, s36, s60                                // 00000000470C: 85153C24
	s_mov_b64 exec, s[20:21]                                   // 000000004710: BEFE0114
	global_atomic_add_f32 v6, v53, s[8:9]                      // 000000004714: DD348000 00083506
	global_atomic_add_f32 v6, v57, s[8:9] offset:256           // 00000000471C: DD348100 00083906
	s_mov_b64 exec, s[36:37]                                   // 000000004724: BEFE0124
	ds_write_b64 v20, v[46:47]                                 // 000000004728: D89A0000 00002E14
	ds_write_b64 v20, v[50:51] offset:4352                     // 000000004730: D89A1100 00003214
	ds_write_b64 v20, v[54:55] offset:2176                     // 000000004738: D89A0880 00003614
	ds_write_b64 v20, v[58:59] offset:6528                     // 000000004740: D89A1980 00003A14
	s_waitcnt lgkmcnt(0)                                       // 000000004748: BF8CC07F
	s_barrier                                                  // 00000000474C: BF8A0000
	ds_read_b32 v46, v21                                       // 000000004750: D86C0000 2E000015
	ds_read_b32 v47, v21 offset:64                             // 000000004758: D86C0040 2F000015
	ds_read_b32 v50, v21 offset:2176                           // 000000004760: D86C0880 32000015
	ds_read_b32 v51, v21 offset:2240                           // 000000004768: D86C08C0 33000015
	ds_read_b32 v54, v21 offset:4352                           // 000000004770: D86C1100 36000015
	ds_read_b32 v55, v21 offset:4416                           // 000000004778: D86C1140 37000015
	ds_read_b32 v58, v21 offset:6528                           // 000000004780: D86C1980 3A000015
	ds_read_b32 v59, v21 offset:6592                           // 000000004788: D86C19C0 3B000015
	s_waitcnt lgkmcnt(0)                                       // 000000004790: BF8CC07F
	v_mov_b32_e32 v7, 0                                        // 000000004794: 7E0E0280
	s_mov_b64 exec, s[36:37]                                   // 000000004798: BEFE0124
	v_mov_b32_e32 v6, v36                                      // 00000000479C: 7E0C0324
	s_mov_b64 s[60:61], 0                                      // 0000000047A0: BEBC0180
	v_readlane_b32 s82, v3, 0                                  // 0000000047A4: D2890052 00010103
	s_and_b32 s82, s82, 0xffffff                               // 0000000047AC: 8652FF52 00FFFFFF
	s_cmp_lt_u32 s82, s66                                      // 0000000047B4: BF0A4252
	s_cselect_b32 s20, s36, s60                                // 0000000047B8: 85143C24
	v_readlane_b32 s82, v3, 1                                  // 0000000047BC: D2890052 00010303
	s_and_b32 s82, s82, 0xffffff                               // 0000000047C4: 8652FF52 00FFFFFF
	s_cmp_lt_u32 s82, s66                                      // 0000000047CC: BF0A4252
	s_cselect_b32 s21, s36, s60                                // 0000000047D0: 85153C24
	s_mov_b64 exec, s[20:21]                                   // 0000000047D4: BEFE0114
	global_atomic_add_f32 v6, v46, s[8:9] offset:8             // 0000000047D8: DD348008 00082E06
	global_atomic_add_f32 v6, v50, s[8:9] offset:264           // 0000000047E0: DD348108 00083206
	s_mov_b64 exec, s[36:37]                                   // 0000000047E8: BEFE0124
	v_mov_b32_e32 v6, v37                                      // 0000000047EC: 7E0C0325
	s_mov_b64 s[60:61], 0                                      // 0000000047F0: BEBC0180
	v_readlane_b32 s82, v3, 2                                  // 0000000047F4: D2890052 00010503
	s_and_b32 s82, s82, 0xffffff                               // 0000000047FC: 8652FF52 00FFFFFF
	s_cmp_lt_u32 s82, s66                                      // 000000004804: BF0A4252
	s_cselect_b32 s20, s36, s60                                // 000000004808: 85143C24
	v_readlane_b32 s82, v3, 3                                  // 00000000480C: D2890052 00010703
	s_and_b32 s82, s82, 0xffffff                               // 000000004814: 8652FF52 00FFFFFF
	s_cmp_lt_u32 s82, s66                                      // 00000000481C: BF0A4252
	s_cselect_b32 s21, s36, s60                                // 000000004820: 85153C24
	s_mov_b64 exec, s[20:21]                                   // 000000004824: BEFE0114
	global_atomic_add_f32 v6, v47, s[8:9] offset:8             // 000000004828: DD348008 00082F06
	global_atomic_add_f32 v6, v51, s[8:9] offset:264           // 000000004830: DD348108 00083306
	s_mov_b64 exec, s[36:37]                                   // 000000004838: BEFE0124
	v_mov_b32_e32 v6, v38                                      // 00000000483C: 7E0C0326
	s_mov_b64 s[60:61], 0                                      // 000000004840: BEBC0180
	v_readlane_b32 s82, v3, 4                                  // 000000004844: D2890052 00010903
	s_and_b32 s82, s82, 0xffffff                               // 00000000484C: 8652FF52 00FFFFFF
	s_cmp_lt_u32 s82, s66                                      // 000000004854: BF0A4252
	s_cselect_b32 s20, s36, s60                                // 000000004858: 85143C24
	v_readlane_b32 s82, v3, 5                                  // 00000000485C: D2890052 00010B03
	s_and_b32 s82, s82, 0xffffff                               // 000000004864: 8652FF52 00FFFFFF
	s_cmp_lt_u32 s82, s66                                      // 00000000486C: BF0A4252
	s_cselect_b32 s21, s36, s60                                // 000000004870: 85153C24
	s_mov_b64 exec, s[20:21]                                   // 000000004874: BEFE0114
	global_atomic_add_f32 v6, v54, s[8:9] offset:8             // 000000004878: DD348008 00083606
	global_atomic_add_f32 v6, v58, s[8:9] offset:264           // 000000004880: DD348108 00083A06
	s_mov_b64 exec, s[36:37]                                   // 000000004888: BEFE0124
	v_mov_b32_e32 v6, v39                                      // 00000000488C: 7E0C0327
	s_mov_b64 s[60:61], 0                                      // 000000004890: BEBC0180
	v_readlane_b32 s82, v3, 6                                  // 000000004894: D2890052 00010D03
	s_and_b32 s82, s82, 0xffffff                               // 00000000489C: 8652FF52 00FFFFFF
	s_cmp_lt_u32 s82, s66                                      // 0000000048A4: BF0A4252
	s_cselect_b32 s20, s36, s60                                // 0000000048A8: 85143C24
	v_readlane_b32 s82, v3, 7                                  // 0000000048AC: D2890052 00010F03
	s_and_b32 s82, s82, 0xffffff                               // 0000000048B4: 8652FF52 00FFFFFF
	s_cmp_lt_u32 s82, s66                                      // 0000000048BC: BF0A4252
	s_cselect_b32 s21, s36, s60                                // 0000000048C0: 85153C24
	s_mov_b64 exec, s[20:21]                                   // 0000000048C4: BEFE0114
	global_atomic_add_f32 v6, v55, s[8:9] offset:8             // 0000000048C8: DD348008 00083706
	global_atomic_add_f32 v6, v59, s[8:9] offset:264           // 0000000048D0: DD348108 00083B06
	s_mov_b64 exec, s[36:37]                                   // 0000000048D8: BEFE0124
	ds_write_b64 v20, v[60:61]                                 // 0000000048DC: D89A0000 00003C14
	ds_write_b64 v20, v[64:65] offset:4352                     // 0000000048E4: D89A1100 00004014
	ds_write_b64 v20, v[68:69] offset:2176                     // 0000000048EC: D89A0880 00004414
	ds_write_b64 v20, v[72:73] offset:6528                     // 0000000048F4: D89A1980 00004814
	s_waitcnt lgkmcnt(0)                                       // 0000000048FC: BF8CC07F
	s_barrier                                                  // 000000004900: BF8A0000
	ds_read_b32 v60, v21                                       // 000000004904: D86C0000 3C000015
	ds_read_b32 v61, v21 offset:64                             // 00000000490C: D86C0040 3D000015
	ds_read_b32 v64, v21 offset:2176                           // 000000004914: D86C0880 40000015
	ds_read_b32 v65, v21 offset:2240                           // 00000000491C: D86C08C0 41000015
	ds_read_b32 v68, v21 offset:4352                           // 000000004924: D86C1100 44000015
	ds_read_b32 v69, v21 offset:4416                           // 00000000492C: D86C1140 45000015
	ds_read_b32 v72, v21 offset:6528                           // 000000004934: D86C1980 48000015
	ds_read_b32 v73, v21 offset:6592                           // 00000000493C: D86C19C0 49000015
	s_mul_i32 s60, s65, 4                                      // 000000004944: 923C8441
	s_add_u32 s8, s60, s8                                      // 000000004948: 8008083C
	s_addc_u32 s9, 0, s9                                       // 00000000494C: 82090980
	s_waitcnt lgkmcnt(0)                                       // 000000004950: BF8CC07F
	v_mov_b32_e32 v7, 0                                        // 000000004954: 7E0E0280
	s_mov_b64 exec, s[36:37]                                   // 000000004958: BEFE0124
	v_mov_b32_e32 v6, v36                                      // 00000000495C: 7E0C0324
	s_mov_b64 s[60:61], 0                                      // 000000004960: BEBC0180
	v_readlane_b32 s82, v3, 0                                  // 000000004964: D2890052 00010103
	s_and_b32 s82, s82, 0xffffff                               // 00000000496C: 8652FF52 00FFFFFF
	s_cmp_lt_u32 s82, s66                                      // 000000004974: BF0A4252
	s_cselect_b32 s20, s36, s60                                // 000000004978: 85143C24
	v_readlane_b32 s82, v3, 1                                  // 00000000497C: D2890052 00010303
	s_and_b32 s82, s82, 0xffffff                               // 000000004984: 8652FF52 00FFFFFF
	s_cmp_lt_u32 s82, s66                                      // 00000000498C: BF0A4252
	s_cselect_b32 s21, s36, s60                                // 000000004990: 85153C24
	s_mov_b64 exec, s[20:21]                                   // 000000004994: BEFE0114
	global_atomic_add_f32 v6, v60, s[8:9]                      // 000000004998: DD348000 00083C06
	global_atomic_add_f32 v6, v64, s[8:9] offset:256           // 0000000049A0: DD348100 00084006
	s_mov_b64 exec, s[36:37]                                   // 0000000049A8: BEFE0124
	v_mov_b32_e32 v6, v37                                      // 0000000049AC: 7E0C0325
	s_mov_b64 s[60:61], 0                                      // 0000000049B0: BEBC0180
	v_readlane_b32 s82, v3, 2                                  // 0000000049B4: D2890052 00010503
	s_and_b32 s82, s82, 0xffffff                               // 0000000049BC: 8652FF52 00FFFFFF
	s_cmp_lt_u32 s82, s66                                      // 0000000049C4: BF0A4252
	s_cselect_b32 s20, s36, s60                                // 0000000049C8: 85143C24
	v_readlane_b32 s82, v3, 3                                  // 0000000049CC: D2890052 00010703
	s_and_b32 s82, s82, 0xffffff                               // 0000000049D4: 8652FF52 00FFFFFF
	s_cmp_lt_u32 s82, s66                                      // 0000000049DC: BF0A4252
	s_cselect_b32 s21, s36, s60                                // 0000000049E0: 85153C24
	s_mov_b64 exec, s[20:21]                                   // 0000000049E4: BEFE0114
	global_atomic_add_f32 v6, v61, s[8:9]                      // 0000000049E8: DD348000 00083D06
	global_atomic_add_f32 v6, v65, s[8:9] offset:256           // 0000000049F0: DD348100 00084106
	s_mov_b64 exec, s[36:37]                                   // 0000000049F8: BEFE0124
	v_mov_b32_e32 v6, v38                                      // 0000000049FC: 7E0C0326
	s_mov_b64 s[60:61], 0                                      // 000000004A00: BEBC0180
	v_readlane_b32 s82, v3, 4                                  // 000000004A04: D2890052 00010903
	s_and_b32 s82, s82, 0xffffff                               // 000000004A0C: 8652FF52 00FFFFFF
	s_cmp_lt_u32 s82, s66                                      // 000000004A14: BF0A4252
	s_cselect_b32 s20, s36, s60                                // 000000004A18: 85143C24
	v_readlane_b32 s82, v3, 5                                  // 000000004A1C: D2890052 00010B03
	s_and_b32 s82, s82, 0xffffff                               // 000000004A24: 8652FF52 00FFFFFF
	s_cmp_lt_u32 s82, s66                                      // 000000004A2C: BF0A4252
	s_cselect_b32 s21, s36, s60                                // 000000004A30: 85153C24
	s_mov_b64 exec, s[20:21]                                   // 000000004A34: BEFE0114
	global_atomic_add_f32 v6, v68, s[8:9]                      // 000000004A38: DD348000 00084406
	global_atomic_add_f32 v6, v72, s[8:9] offset:256           // 000000004A40: DD348100 00084806
	s_mov_b64 exec, s[36:37]                                   // 000000004A48: BEFE0124
	v_mov_b32_e32 v6, v39                                      // 000000004A4C: 7E0C0327
	s_mov_b64 s[60:61], 0                                      // 000000004A50: BEBC0180
	v_readlane_b32 s82, v3, 6                                  // 000000004A54: D2890052 00010D03
	s_and_b32 s82, s82, 0xffffff                               // 000000004A5C: 8652FF52 00FFFFFF
	s_cmp_lt_u32 s82, s66                                      // 000000004A64: BF0A4252
	s_cselect_b32 s20, s36, s60                                // 000000004A68: 85143C24
	v_readlane_b32 s82, v3, 7                                  // 000000004A6C: D2890052 00010F03
	s_and_b32 s82, s82, 0xffffff                               // 000000004A74: 8652FF52 00FFFFFF
	s_cmp_lt_u32 s82, s66                                      // 000000004A7C: BF0A4252
	s_cselect_b32 s21, s36, s60                                // 000000004A80: 85153C24
	s_mov_b64 exec, s[20:21]                                   // 000000004A84: BEFE0114
	global_atomic_add_f32 v6, v69, s[8:9]                      // 000000004A88: DD348000 00084506
	global_atomic_add_f32 v6, v73, s[8:9] offset:256           // 000000004A90: DD348100 00084906
	s_mov_b64 exec, s[36:37]                                   // 000000004A98: BEFE0124
	ds_write_b64 v20, v[62:63]                                 // 000000004A9C: D89A0000 00003E14
	ds_write_b64 v20, v[66:67] offset:4352                     // 000000004AA4: D89A1100 00004214
	ds_write_b64 v20, v[70:71] offset:2176                     // 000000004AAC: D89A0880 00004614
	ds_write_b64 v20, v[74:75] offset:6528                     // 000000004AB4: D89A1980 00004A14
	s_waitcnt lgkmcnt(0)                                       // 000000004ABC: BF8CC07F
	s_barrier                                                  // 000000004AC0: BF8A0000
	ds_read_b32 v62, v21                                       // 000000004AC4: D86C0000 3E000015
	ds_read_b32 v63, v21 offset:64                             // 000000004ACC: D86C0040 3F000015
	ds_read_b32 v66, v21 offset:2176                           // 000000004AD4: D86C0880 42000015
	ds_read_b32 v67, v21 offset:2240                           // 000000004ADC: D86C08C0 43000015
	ds_read_b32 v70, v21 offset:4352                           // 000000004AE4: D86C1100 46000015
	ds_read_b32 v71, v21 offset:4416                           // 000000004AEC: D86C1140 47000015
	ds_read_b32 v74, v21 offset:6528                           // 000000004AF4: D86C1980 4A000015
	ds_read_b32 v75, v21 offset:6592                           // 000000004AFC: D86C19C0 4B000015
	s_waitcnt lgkmcnt(0)                                       // 000000004B04: BF8CC07F
	v_mov_b32_e32 v7, 0                                        // 000000004B08: 7E0E0280
	s_mov_b64 exec, s[36:37]                                   // 000000004B0C: BEFE0124
	v_mov_b32_e32 v6, v36                                      // 000000004B10: 7E0C0324
	s_mov_b64 s[60:61], 0                                      // 000000004B14: BEBC0180
	v_readlane_b32 s82, v3, 0                                  // 000000004B18: D2890052 00010103
	s_and_b32 s82, s82, 0xffffff                               // 000000004B20: 8652FF52 00FFFFFF
	s_cmp_lt_u32 s82, s66                                      // 000000004B28: BF0A4252
	s_cselect_b32 s20, s36, s60                                // 000000004B2C: 85143C24
	v_readlane_b32 s82, v3, 1                                  // 000000004B30: D2890052 00010303
	s_and_b32 s82, s82, 0xffffff                               // 000000004B38: 8652FF52 00FFFFFF
	s_cmp_lt_u32 s82, s66                                      // 000000004B40: BF0A4252
	s_cselect_b32 s21, s36, s60                                // 000000004B44: 85153C24
	s_mov_b64 exec, s[20:21]                                   // 000000004B48: BEFE0114
	global_atomic_add_f32 v6, v62, s[8:9] offset:8             // 000000004B4C: DD348008 00083E06
	global_atomic_add_f32 v6, v66, s[8:9] offset:264           // 000000004B54: DD348108 00084206
	s_mov_b64 exec, s[36:37]                                   // 000000004B5C: BEFE0124
	v_mov_b32_e32 v6, v37                                      // 000000004B60: 7E0C0325
	s_mov_b64 s[60:61], 0                                      // 000000004B64: BEBC0180
	v_readlane_b32 s82, v3, 2                                  // 000000004B68: D2890052 00010503
	s_and_b32 s82, s82, 0xffffff                               // 000000004B70: 8652FF52 00FFFFFF
	s_cmp_lt_u32 s82, s66                                      // 000000004B78: BF0A4252
	s_cselect_b32 s20, s36, s60                                // 000000004B7C: 85143C24
	v_readlane_b32 s82, v3, 3                                  // 000000004B80: D2890052 00010703
	s_and_b32 s82, s82, 0xffffff                               // 000000004B88: 8652FF52 00FFFFFF
	s_cmp_lt_u32 s82, s66                                      // 000000004B90: BF0A4252
	s_cselect_b32 s21, s36, s60                                // 000000004B94: 85153C24
	s_mov_b64 exec, s[20:21]                                   // 000000004B98: BEFE0114
	global_atomic_add_f32 v6, v63, s[8:9] offset:8             // 000000004B9C: DD348008 00083F06
	global_atomic_add_f32 v6, v67, s[8:9] offset:264           // 000000004BA4: DD348108 00084306
	s_mov_b64 exec, s[36:37]                                   // 000000004BAC: BEFE0124
	v_mov_b32_e32 v6, v38                                      // 000000004BB0: 7E0C0326
	s_mov_b64 s[60:61], 0                                      // 000000004BB4: BEBC0180
	v_readlane_b32 s82, v3, 4                                  // 000000004BB8: D2890052 00010903
	s_and_b32 s82, s82, 0xffffff                               // 000000004BC0: 8652FF52 00FFFFFF
	s_cmp_lt_u32 s82, s66                                      // 000000004BC8: BF0A4252
	s_cselect_b32 s20, s36, s60                                // 000000004BCC: 85143C24
	v_readlane_b32 s82, v3, 5                                  // 000000004BD0: D2890052 00010B03
	s_and_b32 s82, s82, 0xffffff                               // 000000004BD8: 8652FF52 00FFFFFF
	s_cmp_lt_u32 s82, s66                                      // 000000004BE0: BF0A4252
	s_cselect_b32 s21, s36, s60                                // 000000004BE4: 85153C24
	s_mov_b64 exec, s[20:21]                                   // 000000004BE8: BEFE0114
	global_atomic_add_f32 v6, v70, s[8:9] offset:8             // 000000004BEC: DD348008 00084606
	global_atomic_add_f32 v6, v74, s[8:9] offset:264           // 000000004BF4: DD348108 00084A06
	s_mov_b64 exec, s[36:37]                                   // 000000004BFC: BEFE0124
	v_mov_b32_e32 v6, v39                                      // 000000004C00: 7E0C0327
	s_mov_b64 s[60:61], 0                                      // 000000004C04: BEBC0180
	v_readlane_b32 s82, v3, 6                                  // 000000004C08: D2890052 00010D03
	s_and_b32 s82, s82, 0xffffff                               // 000000004C10: 8652FF52 00FFFFFF
	s_cmp_lt_u32 s82, s66                                      // 000000004C18: BF0A4252
	s_cselect_b32 s20, s36, s60                                // 000000004C1C: 85143C24
	v_readlane_b32 s82, v3, 7                                  // 000000004C20: D2890052 00010F03
	s_and_b32 s82, s82, 0xffffff                               // 000000004C28: 8652FF52 00FFFFFF
	s_cmp_lt_u32 s82, s66                                      // 000000004C30: BF0A4252
	s_cselect_b32 s21, s36, s60                                // 000000004C34: 85153C24
	s_mov_b64 exec, s[20:21]                                   // 000000004C38: BEFE0114
	global_atomic_add_f32 v6, v71, s[8:9] offset:8             // 000000004C3C: DD348008 00084706
	global_atomic_add_f32 v6, v75, s[8:9] offset:264           // 000000004C44: DD348108 00084B06
	s_mov_b64 exec, s[36:37]                                   // 000000004C4C: BEFE0124
	s_branch label_0F5A                                        // 000000004C50: BF8206C2

0000000000004c54 <label_0898>:
	s_waitcnt vmcnt(2) lgkmcnt(0)                              // 000000004C54: BF8C0072
	s_barrier                                                  // 000000004C58: BF8A0000
	v_mov_b32_e32 v34, v30                                     // 000000004C5C: 7E44031E
	v_mov_b32_e32 v35, v31                                     // 000000004C60: 7E46031F
	v_mul_f32_dpp v4, v24, v34 row_newbcast:0 row_mask:0xf bank_mask:0xf// 000000004C64: 0A0844FA FF015018
	v_mfma_f32_16x16x32_fp8_fp8 v[8:11], a[32:33], a[0:1], 0   // 000000004C6C: D3F30008 1A020120
	buffer_load_dword v27, v23, s[32:35], 0 offen              // 000000004C74: E0501000 80081B17
	buffer_load_dwordx4 a[48:51], v40, s[84:87], 0 offen       // 000000004C7C: E05C1000 80953028
	v_mfma_f32_16x16x32_fp8_fp8 v[8:11], a[34:35], a[2:3], v[8:11]// 000000004C84: D3F30008 1C220522
	v_mfma_f32_16x16x32_fp8_fp8 v[8:11], a[36:37], a[4:5], v[8:11]// 000000004C8C: D3F30008 1C220924
	v_mfma_f32_16x16x32_fp8_fp8 v[8:11], a[38:39], a[6:7], v[8:11]// 000000004C94: D3F30008 1C220D26
	v_mul_f32_dpp v6, v24, v35 row_newbcast:0 row_mask:0xf bank_mask:0xf// 000000004C9C: 0A0C46FA FF015018
	v_mfma_f32_16x16x32_fp8_fp8 v[12:15], a[32:33], a[8:9], 0  // 000000004CA4: D3F3000C 1A021120
	buffer_load_dwordx4 a[52:55], v40, s[84:87], 0 offen offset:1024// 000000004CAC: E05C1400 80953428
	v_mfma_f32_16x16x32_fp8_fp8 v[12:15], a[34:35], a[10:11], v[12:15]// 000000004CB4: D3F3000C 1C321522
	v_mfma_f32_16x16x32_fp8_fp8 v[12:15], a[36:37], a[12:13], v[12:15]// 000000004CBC: D3F3000C 1C321924
	v_mfma_f32_16x16x32_fp8_fp8 v[12:15], a[38:39], a[14:15], v[12:15]// 000000004CC4: D3F3000C 1C321D26
	v_fma_f32 v44, v8, v4, v44                                 // 000000004CCC: D1CB002C 04B20908
	v_fma_f32 v45, v9, v4, v45                                 // 000000004CD4: D1CB002D 04B60909
	v_fma_f32 v46, v10, v4, v46                                // 000000004CDC: D1CB002E 04BA090A
	v_fma_f32 v47, v11, v4, v47                                // 000000004CE4: D1CB002F 04BE090B
	s_waitcnt vmcnt(3)                                         // 000000004CEC: BF8C0F73
	v_mul_f32_dpp v4, v24, v34 row_newbcast:0 row_mask:0xf bank_mask:0xf// 000000004CF0: 0A0844FA FF015018
	v_mfma_f32_16x16x32_fp8_fp8 v[8:11], a[40:41], a[0:1], 0   // 000000004CF8: D3F30008 1A020128
	buffer_load_dwordx4 a[56:59], v41, s[84:87], 0 offen       // 000000004D00: E05C1000 80953829
	v_mfma_f32_16x16x32_fp8_fp8 v[8:11], a[42:43], a[2:3], v[8:11]// 000000004D08: D3F30008 1C22052A
	v_mfma_f32_16x16x32_fp8_fp8 v[8:11], a[44:45], a[4:5], v[8:11]// 000000004D10: D3F30008 1C22092C
	v_mfma_f32_16x16x32_fp8_fp8 v[8:11], a[46:47], a[6:7], v[8:11]// 000000004D18: D3F30008 1C220D2E
	v_fma_f32 v48, v12, v6, v48                                // 000000004D20: D1CB0030 04C20D0C
	v_fma_f32 v49, v13, v6, v49                                // 000000004D28: D1CB0031 04C60D0D
	v_fma_f32 v50, v14, v6, v50                                // 000000004D30: D1CB0032 04CA0D0E
	v_fma_f32 v51, v15, v6, v51                                // 000000004D38: D1CB0033 04CE0D0F
	v_mul_f32_dpp v6, v24, v35 row_newbcast:0 row_mask:0xf bank_mask:0xf// 000000004D40: 0A0C46FA FF015018
	v_mfma_f32_16x16x32_fp8_fp8 v[12:15], a[40:41], a[8:9], 0  // 000000004D48: D3F3000C 1A021128
	buffer_load_dwordx4 a[60:63], v41, s[84:87], 0 offen offset:1024// 000000004D50: E05C1400 80953C29
	buffer_load_dword v36, s[20:23], 0 offen lds               // 000000004D58: E0511000 80050024
	s_add_u32 m0, 0x100, s48                                   // 000000004D60: 807C30FF 00000100
	v_mfma_f32_16x16x32_fp8_fp8 v[12:15], a[42:43], a[10:11], v[12:15]// 000000004D68: D3F3000C 1C32152A
	s_add_u32 s60, 0x80, s80                                   // 000000004D70: 803C50FF 00000080
	s_cmp_lt_u32 s60, s81                                      // 000000004D78: BF0A513C
	s_cselect_b32 s83, s83, 0                                  // 000000004D7C: 85538053
	s_cselect_b32 s4, s4, 0                                    // 000000004D80: 85048004
	v_mfma_f32_16x16x32_fp8_fp8 v[12:15], a[44:45], a[12:13], v[12:15]// 000000004D84: D3F3000C 1C32192C
	buffer_load_dword v37, s[20:23], 0 offen lds               // 000000004D8C: E0511000 80050025
	s_add_u32 m0, 0x200, s48                                   // 000000004D94: 807C30FF 00000200
	s_add_u32 s32, s4, s32                                     // 000000004D9C: 80202004
	s_addc_u32 s33, 0, s33                                     // 000000004DA0: 82212180
	v_mfma_f32_16x16x32_fp8_fp8 v[12:15], a[46:47], a[14:15], v[12:15]// 000000004DA4: D3F3000C 1C321D2E
	v_fma_f32 v52, v8, v4, v52                                 // 000000004DAC: D1CB0034 04D20908
	v_fma_f32 v53, v9, v4, v53                                 // 000000004DB4: D1CB0035 04D60909
	v_fma_f32 v54, v10, v4, v54                                // 000000004DBC: D1CB0036 04DA090A
	v_fma_f32 v55, v11, v4, v55                                // 000000004DC4: D1CB0037 04DE090B
	v_fma_f32 v56, v12, v6, v56                                // 000000004DCC: D1CB0038 04E20D0C
	v_fma_f32 v57, v13, v6, v57                                // 000000004DD4: D1CB0039 04E60D0D
	v_fma_f32 v58, v14, v6, v58                                // 000000004DDC: D1CB003A 04EA0D0E
	v_fma_f32 v59, v15, v6, v59                                // 000000004DE4: D1CB003B 04EE0D0F
	buffer_load_dword v38, s[20:23], 0 offen lds               // 000000004DEC: E0511000 80050026
	s_add_u32 m0, 0x300, s48                                   // 000000004DF4: 807C30FF 00000300
	buffer_load_dword v39, s[20:23], 0 offen lds               // 000000004DFC: E0511000 80050027
	s_add_u32 m0, 0, s49                                       // 000000004E04: 807C3180
	buffer_load_dword v30, v28, s[28:31], 0 offen              // 000000004E08: E0501000 80071E1C
	buffer_load_dword v31, v29, s[28:31], 0 offen              // 000000004E10: E0501000 80071F1D
	s_waitcnt vmcnt(6)                                         // 000000004E18: BF8C0F76
	v_mul_f32_dpp v4, v27, v34 row_newbcast:0 row_mask:0xf bank_mask:0xf// 000000004E1C: 0A0844FA FF01501B
	v_mfma_f32_16x16x32_fp8_fp8 v[8:11], a[48:49], a[0:1], 0   // 000000004E24: D3F30008 1A020130
	buffer_load_dword v24, v22, s[32:35], 0 offen              // 000000004E2C: E0501000 80081816
	buffer_load_dwordx4 a[32:35], v40, s[24:27], 0 offen       // 000000004E34: E05C1000 80862028
	v_mfma_f32_16x16x32_fp8_fp8 v[8:11], a[50:51], a[2:3], v[8:11]// 000000004E3C: D3F30008 1C220532
	v_mfma_f32_16x16x32_fp8_fp8 v[8:11], a[52:53], a[4:5], v[8:11]// 000000004E44: D3F30008 1C220934
	ds_read_b128 a[16:19], v2 offset:4224                      // 000000004E4C: DBFE1080 10000002
	ds_read_b128 a[20:23], v2 offset:4288                      // 000000004E54: DBFE10C0 14000002
	v_mfma_f32_16x16x32_fp8_fp8 v[8:11], a[54:55], a[6:7], v[8:11]// 000000004E5C: D3F30008 1C220D36
	v_mfma_f32_16x16x32_fp8_fp8 v[12:15], a[56:57], a[0:1], 0  // 000000004E64: D3F3000C 1A020138
	buffer_load_dwordx4 a[36:39], v40, s[24:27], 0 offen offset:1024// 000000004E6C: E05C1400 80862428
	v_mfma_f32_16x16x32_fp8_fp8 v[12:15], a[58:59], a[2:3], v[12:15]// 000000004E74: D3F3000C 1C32053A
	v_mfma_f32_16x16x32_fp8_fp8 v[12:15], a[60:61], a[4:5], v[12:15]// 000000004E7C: D3F3000C 1C32093C
	ds_read_b128 a[24:27], v2 offset:4736                      // 000000004E84: DBFE1280 18000002
	ds_read_b128 a[28:31], v2 offset:4800                      // 000000004E8C: DBFE12C0 1C000002
	v_mfma_f32_16x16x32_fp8_fp8 v[12:15], a[62:63], a[6:7], v[12:15]// 000000004E94: D3F3000C 1C320D3E
	v_fma_f32 v60, v8, v4, v60                                 // 000000004E9C: D1CB003C 04F20908
	v_fma_f32 v61, v9, v4, v61                                 // 000000004EA4: D1CB003D 04F60909
	v_fma_f32 v62, v10, v4, v62                                // 000000004EAC: D1CB003E 04FA090A
	v_fma_f32 v63, v11, v4, v63                                // 000000004EB4: D1CB003F 04FE090B
	v_mul_f32_dpp v6, v27, v35 row_newbcast:0 row_mask:0xf bank_mask:0xf// 000000004EBC: 0A0C46FA FF01501B
	v_mfma_f32_16x16x32_fp8_fp8 v[8:11], a[48:49], a[8:9], 0   // 000000004EC4: D3F30008 1A021130
	buffer_load_dwordx4 a[40:43], v41, s[24:27], 0 offen       // 000000004ECC: E05C1000 80862829
	v_mfma_f32_16x16x32_fp8_fp8 v[8:11], a[50:51], a[10:11], v[8:11]// 000000004ED4: D3F30008 1C221532
	v_mfma_f32_16x16x32_fp8_fp8 v[8:11], a[52:53], a[12:13], v[8:11]// 000000004EDC: D3F30008 1C221934
	s_add_u32 s60, 0x180, s80                                  // 000000004EE4: 803C50FF 00000180
	s_cmp_lt_u32 s60, s81                                      // 000000004EEC: BF0A513C
	s_cselect_b32 s57, s57, 0                                  // 000000004EF0: 85398039
	s_cselect_b32 s3, s3, 0                                    // 000000004EF4: 85038003
	v_mfma_f32_16x16x32_fp8_fp8 v[8:11], a[54:55], a[14:15], v[8:11]// 000000004EF8: D3F30008 1C221D36
	s_add_u32 s60, 0x100, s80                                  // 000000004F00: 803C50FF 00000100
	s_cmp_lt_u32 s60, s81                                      // 000000004F08: BF0A513C
	s_cselect_b32 s58, s58, 0                                  // 000000004F0C: 853A803A
	v_fma_f32 v68, v12, v4, v68                                // 000000004F10: D1CB0044 0512090C
	v_fma_f32 v69, v13, v4, v69                                // 000000004F18: D1CB0045 0516090D
	v_fma_f32 v70, v14, v4, v70                                // 000000004F20: D1CB0046 051A090E
	v_fma_f32 v71, v15, v4, v71                                // 000000004F28: D1CB0047 051E090F
	v_mfma_f32_16x16x32_fp8_fp8 v[12:15], a[56:57], a[8:9], 0  // 000000004F30: D3F3000C 1A021138
	buffer_load_dwordx4 a[44:47], v41, s[24:27], 0 offen offset:1024// 000000004F38: E05C1400 80862C29
	s_add_u32 s24, s58, s24                                    // 000000004F40: 8018183A
	s_addc_u32 s25, 0, s25                                     // 000000004F44: 82191980
	v_mfma_f32_16x16x32_fp8_fp8 v[12:15], a[58:59], a[10:11], v[12:15]// 000000004F48: D3F3000C 1C32153A
	s_add_u32 s20, s57, s20                                    // 000000004F50: 80141439
	s_addc_u32 s21, 0, s21                                     // 000000004F54: 82151580
	s_add_u32 s28, s3, s28                                     // 000000004F58: 801C1C03
	s_addc_u32 s29, 0, s29                                     // 000000004F5C: 821D1D80
	v_mfma_f32_16x16x32_fp8_fp8 v[12:15], a[60:61], a[12:13], v[12:15]// 000000004F60: D3F3000C 1C32193C
	s_add_u32 s84, s83, s84                                    // 000000004F68: 80545453
	s_addc_u32 s85, 0, s85                                     // 000000004F6C: 82555580
	v_mfma_f32_16x16x32_fp8_fp8 v[12:15], a[62:63], a[14:15], v[12:15]// 000000004F70: D3F3000C 1C321D3E
	v_fma_f32 v64, v8, v6, v64                                 // 000000004F78: D1CB0040 05020D08
	v_fma_f32 v65, v9, v6, v65                                 // 000000004F80: D1CB0041 05060D09
	v_fma_f32 v66, v10, v6, v66                                // 000000004F88: D1CB0042 050A0D0A
	v_fma_f32 v67, v11, v6, v67                                // 000000004F90: D1CB0043 050E0D0B
	v_fma_f32 v72, v12, v6, v72                                // 000000004F98: D1CB0048 05220D0C
	v_fma_f32 v73, v13, v6, v73                                // 000000004FA0: D1CB0049 05260D0D
	v_fma_f32 v74, v14, v6, v74                                // 000000004FA8: D1CB004A 052A0D0E
	v_fma_f32 v75, v15, v6, v75                                // 000000004FB0: D1CB004B 052E0D0F
	s_addk_i32 s80, 0x80                                       // 000000004FB8: B7500080
	s_cmp_lt_i32 s80, s81                                      // 000000004FBC: BF045150
	s_cbranch_scc0 label_0A51                                  // 000000004FC0: BF8400DD
	s_waitcnt vmcnt(2) lgkmcnt(0)                              // 000000004FC4: BF8C0072
	s_barrier                                                  // 000000004FC8: BF8A0000
	v_mov_b32_e32 v34, v32                                     // 000000004FCC: 7E440320
	v_mov_b32_e32 v35, v33                                     // 000000004FD0: 7E460321
	v_mul_f32_dpp v4, v24, v34 row_newbcast:0 row_mask:0xf bank_mask:0xf// 000000004FD4: 0A0844FA FF015018
	v_mfma_f32_16x16x32_fp8_fp8 v[8:11], a[32:33], a[16:17], 0 // 000000004FDC: D3F30008 1A022120
	buffer_load_dword v27, v23, s[32:35], 0 offen              // 000000004FE4: E0501000 80081B17
	buffer_load_dwordx4 a[48:51], v40, s[84:87], 0 offen       // 000000004FEC: E05C1000 80953028
	v_mfma_f32_16x16x32_fp8_fp8 v[8:11], a[34:35], a[18:19], v[8:11]// 000000004FF4: D3F30008 1C222522
	v_mfma_f32_16x16x32_fp8_fp8 v[8:11], a[36:37], a[20:21], v[8:11]// 000000004FFC: D3F30008 1C222924
	v_mfma_f32_16x16x32_fp8_fp8 v[8:11], a[38:39], a[22:23], v[8:11]// 000000005004: D3F30008 1C222D26
	v_mul_f32_dpp v6, v24, v35 row_newbcast:0 row_mask:0xf bank_mask:0xf// 00000000500C: 0A0C46FA FF015018
	v_mfma_f32_16x16x32_fp8_fp8 v[12:15], a[32:33], a[24:25], 0// 000000005014: D3F3000C 1A023120
	buffer_load_dwordx4 a[52:55], v40, s[84:87], 0 offen offset:1024// 00000000501C: E05C1400 80953428
	v_mfma_f32_16x16x32_fp8_fp8 v[12:15], a[34:35], a[26:27], v[12:15]// 000000005024: D3F3000C 1C323522
	v_mfma_f32_16x16x32_fp8_fp8 v[12:15], a[36:37], a[28:29], v[12:15]// 00000000502C: D3F3000C 1C323924
	v_mfma_f32_16x16x32_fp8_fp8 v[12:15], a[38:39], a[30:31], v[12:15]// 000000005034: D3F3000C 1C323D26
	v_fma_f32 v44, v8, v4, v44                                 // 00000000503C: D1CB002C 04B20908
	v_fma_f32 v45, v9, v4, v45                                 // 000000005044: D1CB002D 04B60909
	v_fma_f32 v46, v10, v4, v46                                // 00000000504C: D1CB002E 04BA090A
	v_fma_f32 v47, v11, v4, v47                                // 000000005054: D1CB002F 04BE090B
	s_waitcnt vmcnt(3)                                         // 00000000505C: BF8C0F73
	v_mul_f32_dpp v4, v24, v34 row_newbcast:0 row_mask:0xf bank_mask:0xf// 000000005060: 0A0844FA FF015018
	v_mfma_f32_16x16x32_fp8_fp8 v[8:11], a[40:41], a[16:17], 0 // 000000005068: D3F30008 1A022128
	buffer_load_dwordx4 a[56:59], v41, s[84:87], 0 offen       // 000000005070: E05C1000 80953829
	v_mfma_f32_16x16x32_fp8_fp8 v[8:11], a[42:43], a[18:19], v[8:11]// 000000005078: D3F30008 1C22252A
	v_mfma_f32_16x16x32_fp8_fp8 v[8:11], a[44:45], a[20:21], v[8:11]// 000000005080: D3F30008 1C22292C
	v_mfma_f32_16x16x32_fp8_fp8 v[8:11], a[46:47], a[22:23], v[8:11]// 000000005088: D3F30008 1C222D2E
	v_fma_f32 v48, v12, v6, v48                                // 000000005090: D1CB0030 04C20D0C
	v_fma_f32 v49, v13, v6, v49                                // 000000005098: D1CB0031 04C60D0D
	v_fma_f32 v50, v14, v6, v50                                // 0000000050A0: D1CB0032 04CA0D0E
	v_fma_f32 v51, v15, v6, v51                                // 0000000050A8: D1CB0033 04CE0D0F
	v_mul_f32_dpp v6, v24, v35 row_newbcast:0 row_mask:0xf bank_mask:0xf// 0000000050B0: 0A0C46FA FF015018
	v_mfma_f32_16x16x32_fp8_fp8 v[12:15], a[40:41], a[24:25], 0// 0000000050B8: D3F3000C 1A023128
	buffer_load_dwordx4 a[60:63], v41, s[84:87], 0 offen offset:1024// 0000000050C0: E05C1400 80953C29
	buffer_load_dword v36, s[20:23], 0 offen lds               // 0000000050C8: E0511000 80050024
	s_add_u32 m0, 0x100, s49                                   // 0000000050D0: 807C31FF 00000100
	v_mfma_f32_16x16x32_fp8_fp8 v[12:15], a[42:43], a[26:27], v[12:15]// 0000000050D8: D3F3000C 1C32352A
	s_add_u32 s60, 0x80, s80                                   // 0000000050E0: 803C50FF 00000080
	s_cmp_lt_u32 s60, s81                                      // 0000000050E8: BF0A513C
	s_cselect_b32 s83, s83, 0                                  // 0000000050EC: 85538053
	s_cselect_b32 s4, s4, 0                                    // 0000000050F0: 85048004
	v_mfma_f32_16x16x32_fp8_fp8 v[12:15], a[44:45], a[28:29], v[12:15]// 0000000050F4: D3F3000C 1C32392C
	buffer_load_dword v37, s[20:23], 0 offen lds               // 0000000050FC: E0511000 80050025
	s_add_u32 m0, 0x200, s49                                   // 000000005104: 807C31FF 00000200
	s_add_u32 s32, s4, s32                                     // 00000000510C: 80202004
	s_addc_u32 s33, 0, s33                                     // 000000005110: 82212180
	v_mfma_f32_16x16x32_fp8_fp8 v[12:15], a[46:47], a[30:31], v[12:15]// 000000005114: D3F3000C 1C323D2E
	v_fma_f32 v52, v8, v4, v52                                 // 00000000511C: D1CB0034 04D20908
	v_fma_f32 v53, v9, v4, v53                                 // 000000005124: D1CB0035 04D60909
	v_fma_f32 v54, v10, v4, v54                                // 00000000512C: D1CB0036 04DA090A
	v_fma_f32 v55, v11, v4, v55                                // 000000005134: D1CB0037 04DE090B
	v_fma_f32 v56, v12, v6, v56                                // 00000000513C: D1CB0038 04E20D0C
	v_fma_f32 v57, v13, v6, v57                                // 000000005144: D1CB0039 04E60D0D
	v_fma_f32 v58, v14, v6, v58                                // 00000000514C: D1CB003A 04EA0D0E
	v_fma_f32 v59, v15, v6, v59                                // 000000005154: D1CB003B 04EE0D0F
	buffer_load_dword v38, s[20:23], 0 offen lds               // 00000000515C: E0511000 80050026
	s_add_u32 m0, 0x300, s49                                   // 000000005164: 807C31FF 00000300
	buffer_load_dword v39, s[20:23], 0 offen lds               // 00000000516C: E0511000 80050027
	s_add_u32 m0, 0, s48                                       // 000000005174: 807C3080
	buffer_load_dword v32, v28, s[28:31], 0 offen              // 000000005178: E0501000 8007201C
	buffer_load_dword v33, v29, s[28:31], 0 offen              // 000000005180: E0501000 8007211D
	s_waitcnt vmcnt(6)                                         // 000000005188: BF8C0F76
	v_mul_f32_dpp v4, v27, v34 row_newbcast:0 row_mask:0xf bank_mask:0xf// 00000000518C: 0A0844FA FF01501B
	v_mfma_f32_16x16x32_fp8_fp8 v[8:11], a[48:49], a[16:17], 0 // 000000005194: D3F30008 1A022130
	buffer_load_dword v24, v22, s[32:35], 0 offen              // 00000000519C: E0501000 80081816
	buffer_load_dwordx4 a[32:35], v40, s[24:27], 0 offen       // 0000000051A4: E05C1000 80862028
	v_mfma_f32_16x16x32_fp8_fp8 v[8:11], a[50:51], a[18:19], v[8:11]// 0000000051AC: D3F30008 1C222532
	v_mfma_f32_16x16x32_fp8_fp8 v[8:11], a[52:53], a[20:21], v[8:11]// 0000000051B4: D3F30008 1C222934
	ds_read_b128 a[0:3], v2                                    // 0000000051BC: DBFE0000 00000002
	ds_read_b128 a[4:7], v2 offset:64                          // 0000000051C4: DBFE0040 04000002
	v_mfma_f32_16x16x32_fp8_fp8 v[8:11], a[54:55], a[22:23], v[8:11]// 0000000051CC: D3F30008 1C222D36
	v_mfma_f32_16x16x32_fp8_fp8 v[12:15], a[56:57], a[16:17], 0// 0000000051D4: D3F3000C 1A022138
	buffer_load_dwordx4 a[36:39], v40, s[24:27], 0 offen offset:1024// 0000000051DC: E05C1400 80862428
	v_mfma_f32_16x16x32_fp8_fp8 v[12:15], a[58:59], a[18:19], v[12:15]// 0000000051E4: D3F3000C 1C32253A
	v_mfma_f32_16x16x32_fp8_fp8 v[12:15], a[60:61], a[20:21], v[12:15]// 0000000051EC: D3F3000C 1C32293C
	ds_read_b128 a[8:11], v2 offset:512                        // 0000000051F4: DBFE0200 08000002
	ds_read_b128 a[12:15], v2 offset:576                       // 0000000051FC: DBFE0240 0C000002
	v_mfma_f32_16x16x32_fp8_fp8 v[12:15], a[62:63], a[22:23], v[12:15]// 000000005204: D3F3000C 1C322D3E
	v_fma_f32 v60, v8, v4, v60                                 // 00000000520C: D1CB003C 04F20908
	v_fma_f32 v61, v9, v4, v61                                 // 000000005214: D1CB003D 04F60909
	v_fma_f32 v62, v10, v4, v62                                // 00000000521C: D1CB003E 04FA090A
	v_fma_f32 v63, v11, v4, v63                                // 000000005224: D1CB003F 04FE090B
	v_mul_f32_dpp v6, v27, v35 row_newbcast:0 row_mask:0xf bank_mask:0xf// 00000000522C: 0A0C46FA FF01501B
	v_mfma_f32_16x16x32_fp8_fp8 v[8:11], a[48:49], a[24:25], 0 // 000000005234: D3F30008 1A023130
	buffer_load_dwordx4 a[40:43], v41, s[24:27], 0 offen       // 00000000523C: E05C1000 80862829
	v_mfma_f32_16x16x32_fp8_fp8 v[8:11], a[50:51], a[26:27], v[8:11]// 000000005244: D3F30008 1C223532
	v_mfma_f32_16x16x32_fp8_fp8 v[8:11], a[52:53], a[28:29], v[8:11]// 00000000524C: D3F30008 1C223934
	s_add_u32 s60, 0x180, s80                                  // 000000005254: 803C50FF 00000180
	s_cmp_lt_u32 s60, s81                                      // 00000000525C: BF0A513C
	s_cselect_b32 s57, s57, 0                                  // 000000005260: 85398039
	s_cselect_b32 s3, s3, 0                                    // 000000005264: 85038003
	v_mfma_f32_16x16x32_fp8_fp8 v[8:11], a[54:55], a[30:31], v[8:11]// 000000005268: D3F30008 1C223D36
	s_add_u32 s60, 0x100, s80                                  // 000000005270: 803C50FF 00000100
	s_cmp_lt_u32 s60, s81                                      // 000000005278: BF0A513C
	s_cselect_b32 s58, s58, 0                                  // 00000000527C: 853A803A
	v_fma_f32 v68, v12, v4, v68                                // 000000005280: D1CB0044 0512090C
	v_fma_f32 v69, v13, v4, v69                                // 000000005288: D1CB0045 0516090D
	v_fma_f32 v70, v14, v4, v70                                // 000000005290: D1CB0046 051A090E
	v_fma_f32 v71, v15, v4, v71                                // 000000005298: D1CB0047 051E090F
	v_mfma_f32_16x16x32_fp8_fp8 v[12:15], a[56:57], a[24:25], 0// 0000000052A0: D3F3000C 1A023138
	buffer_load_dwordx4 a[44:47], v41, s[24:27], 0 offen offset:1024// 0000000052A8: E05C1400 80862C29
	s_add_u32 s24, s58, s24                                    // 0000000052B0: 8018183A
	s_addc_u32 s25, 0, s25                                     // 0000000052B4: 82191980
	v_mfma_f32_16x16x32_fp8_fp8 v[12:15], a[58:59], a[26:27], v[12:15]// 0000000052B8: D3F3000C 1C32353A
	s_add_u32 s20, s57, s20                                    // 0000000052C0: 80141439
	s_addc_u32 s21, 0, s21                                     // 0000000052C4: 82151580
	s_add_u32 s28, s3, s28                                     // 0000000052C8: 801C1C03
	s_addc_u32 s29, 0, s29                                     // 0000000052CC: 821D1D80
	v_mfma_f32_16x16x32_fp8_fp8 v[12:15], a[60:61], a[28:29], v[12:15]// 0000000052D0: D3F3000C 1C32393C
	s_add_u32 s84, s83, s84                                    // 0000000052D8: 80545453
	s_addc_u32 s85, 0, s85                                     // 0000000052DC: 82555580
	v_mfma_f32_16x16x32_fp8_fp8 v[12:15], a[62:63], a[30:31], v[12:15]// 0000000052E0: D3F3000C 1C323D3E
	v_fma_f32 v64, v8, v6, v64                                 // 0000000052E8: D1CB0040 05020D08
	v_fma_f32 v65, v9, v6, v65                                 // 0000000052F0: D1CB0041 05060D09
	v_fma_f32 v66, v10, v6, v66                                // 0000000052F8: D1CB0042 050A0D0A
	v_fma_f32 v67, v11, v6, v67                                // 000000005300: D1CB0043 050E0D0B
	v_fma_f32 v72, v12, v6, v72                                // 000000005308: D1CB0048 05220D0C
	v_fma_f32 v73, v13, v6, v73                                // 000000005310: D1CB0049 05260D0D
	v_fma_f32 v74, v14, v6, v74                                // 000000005318: D1CB004A 052A0D0E
	v_fma_f32 v75, v15, v6, v75                                // 000000005320: D1CB004B 052E0D0F
	s_addk_i32 s80, 0x80                                       // 000000005328: B7500080
	s_cmp_lt_i32 s80, s81                                      // 00000000532C: BF045150
	s_cbranch_scc0 label_0A51                                  // 000000005330: BF840001
	s_branch label_0898                                        // 000000005334: BF82FE47

0000000000005338 <label_0A51>:
	s_cmp_eq_u32 s88, 0                                        // 000000005338: BF068058
	s_cbranch_scc0 label_0D38                                  // 00000000533C: BF8402E5
	s_cmp_eq_u32 s89, 0                                        // 000000005340: BF068059
	s_cbranch_scc1 label_0AFA                                  // 000000005344: BF8500A5
	v_mov_b32_e32 v8, v1                                       // 000000005348: 7E100301
	v_mov_b32_e32 v9, v1                                       // 00000000534C: 7E120301
	s_mov_b32 s60, s6                                          // 000000005350: BEBC0006
	s_mov_b32 s61, s6                                          // 000000005354: BEBD0006
	v_pk_mul_f32 v[4:5], v[44:45], v[44:45]                    // 000000005358: D3B14004 1802592C
	v_pk_mul_f32 v[6:7], v[46:47], v[46:47]                    // 000000005360: D3B14006 18025D2E
	v_pk_fma_f32 v[4:5], v[4:5], s[78:79], v[8:9]              // 000000005368: D3B04004 1C209D04
	v_pk_fma_f32 v[6:7], v[6:7], s[78:79], v[8:9]              // 000000005370: D3B04006 1C209D06
	v_pk_mul_f32 v[4:5], v[4:5], v[44:45]                      // 000000005378: D3B14004 18025904
	v_pk_mul_f32 v[6:7], v[6:7], v[46:47]                      // 000000005380: D3B14006 18025D06
	v_pk_mul_f32 v[4:5], v[4:5], s[60:61]                      // 000000005388: D3B14004 18007904
	v_pk_mul_f32 v[6:7], v[6:7], s[60:61]                      // 000000005390: D3B14006 18007906
	v_exp_f32_e32 v4, v4                                       // 000000005398: 7E084104
	v_exp_f32_e32 v5, v5                                       // 00000000539C: 7E0A4105
	v_exp_f32_e32 v6, v6                                       // 0000000053A0: 7E0C4106
	v_exp_f32_e32 v7, v7                                       // 0000000053A4: 7E0E4107
	v_add_f32_e64 v4, v4, 1.0                                  // 0000000053A8: D1010004 0001E504
	v_add_f32_e64 v5, v5, 1.0                                  // 0000000053B0: D1010005 0001E505
	v_add_f32_e64 v6, v6, 1.0                                  // 0000000053B8: D1010006 0001E506
	v_add_f32_e64 v7, v7, 1.0                                  // 0000000053C0: D1010007 0001E507
	v_rcp_f32_e32 v4, v4                                       // 0000000053C8: 7E084504
	v_rcp_f32_e32 v5, v5                                       // 0000000053CC: 7E0A4505
	v_rcp_f32_e32 v6, v6                                       // 0000000053D0: 7E0C4506
	v_rcp_f32_e32 v7, v7                                       // 0000000053D4: 7E0E4507
	v_mul_f32_e32 v44, v44, v4                                 // 0000000053D8: 0A58092C
	v_mul_f32_e32 v45, v45, v5                                 // 0000000053DC: 0A5A0B2D
	v_mul_f32_e32 v46, v46, v6                                 // 0000000053E0: 0A5C0D2E
	v_mul_f32_e32 v47, v47, v7                                 // 0000000053E4: 0A5E0F2F
	v_mul_f32_e32 v44, v44, v60                                // 0000000053E8: 0A58792C
	v_mul_f32_e32 v45, v45, v61                                // 0000000053EC: 0A5A7B2D
	v_mul_f32_e32 v46, v46, v62                                // 0000000053F0: 0A5C7D2E
	v_mul_f32_e32 v47, v47, v63                                // 0000000053F4: 0A5E7F2F
	v_pk_mul_f32 v[4:5], v[48:49], v[48:49]                    // 0000000053F8: D3B14004 18026130
	v_pk_mul_f32 v[6:7], v[50:51], v[50:51]                    // 000000005400: D3B14006 18026532
	v_pk_fma_f32 v[4:5], v[4:5], s[78:79], v[8:9]              // 000000005408: D3B04004 1C209D04
	v_pk_fma_f32 v[6:7], v[6:7], s[78:79], v[8:9]              // 000000005410: D3B04006 1C209D06
	v_pk_mul_f32 v[4:5], v[4:5], v[48:49]                      // 000000005418: D3B14004 18026104
	v_pk_mul_f32 v[6:7], v[6:7], v[50:51]                      // 000000005420: D3B14006 18026506
	v_pk_mul_f32 v[4:5], v[4:5], s[60:61]                      // 000000005428: D3B14004 18007904
	v_pk_mul_f32 v[6:7], v[6:7], s[60:61]                      // 000000005430: D3B14006 18007906
	v_exp_f32_e32 v4, v4                                       // 000000005438: 7E084104
	v_exp_f32_e32 v5, v5                                       // 00000000543C: 7E0A4105
	v_exp_f32_e32 v6, v6                                       // 000000005440: 7E0C4106
	v_exp_f32_e32 v7, v7                                       // 000000005444: 7E0E4107
	v_add_f32_e64 v4, v4, 1.0                                  // 000000005448: D1010004 0001E504
	v_add_f32_e64 v5, v5, 1.0                                  // 000000005450: D1010005 0001E505
	v_add_f32_e64 v6, v6, 1.0                                  // 000000005458: D1010006 0001E506
	v_add_f32_e64 v7, v7, 1.0                                  // 000000005460: D1010007 0001E507
	v_rcp_f32_e32 v4, v4                                       // 000000005468: 7E084504
	v_rcp_f32_e32 v5, v5                                       // 00000000546C: 7E0A4505
	v_rcp_f32_e32 v6, v6                                       // 000000005470: 7E0C4506
	v_rcp_f32_e32 v7, v7                                       // 000000005474: 7E0E4507
	v_mul_f32_e32 v48, v48, v4                                 // 000000005478: 0A600930
	v_mul_f32_e32 v49, v49, v5                                 // 00000000547C: 0A620B31
	v_mul_f32_e32 v50, v50, v6                                 // 000000005480: 0A640D32
	v_mul_f32_e32 v51, v51, v7                                 // 000000005484: 0A660F33
	v_mul_f32_e32 v48, v48, v64                                // 000000005488: 0A608130
	v_mul_f32_e32 v49, v49, v65                                // 00000000548C: 0A628331
	v_mul_f32_e32 v50, v50, v66                                // 000000005490: 0A648532
	v_mul_f32_e32 v51, v51, v67                                // 000000005494: 0A668733
	v_pk_mul_f32 v[4:5], v[52:53], v[52:53]                    // 000000005498: D3B14004 18026934
	v_pk_mul_f32 v[6:7], v[54:55], v[54:55]                    // 0000000054A0: D3B14006 18026D36
	v_pk_fma_f32 v[4:5], v[4:5], s[78:79], v[8:9]              // 0000000054A8: D3B04004 1C209D04
	v_pk_fma_f32 v[6:7], v[6:7], s[78:79], v[8:9]              // 0000000054B0: D3B04006 1C209D06
	v_pk_mul_f32 v[4:5], v[4:5], v[52:53]                      // 0000000054B8: D3B14004 18026904
	v_pk_mul_f32 v[6:7], v[6:7], v[54:55]                      // 0000000054C0: D3B14006 18026D06
	v_pk_mul_f32 v[4:5], v[4:5], s[60:61]                      // 0000000054C8: D3B14004 18007904
	v_pk_mul_f32 v[6:7], v[6:7], s[60:61]                      // 0000000054D0: D3B14006 18007906
	v_exp_f32_e32 v4, v4                                       // 0000000054D8: 7E084104
	v_exp_f32_e32 v5, v5                                       // 0000000054DC: 7E0A4105
	v_exp_f32_e32 v6, v6                                       // 0000000054E0: 7E0C4106
	v_exp_f32_e32 v7, v7                                       // 0000000054E4: 7E0E4107
	v_add_f32_e64 v4, v4, 1.0                                  // 0000000054E8: D1010004 0001E504
	v_add_f32_e64 v5, v5, 1.0                                  // 0000000054F0: D1010005 0001E505
	v_add_f32_e64 v6, v6, 1.0                                  // 0000000054F8: D1010006 0001E506
	v_add_f32_e64 v7, v7, 1.0                                  // 000000005500: D1010007 0001E507
	v_rcp_f32_e32 v4, v4                                       // 000000005508: 7E084504
	v_rcp_f32_e32 v5, v5                                       // 00000000550C: 7E0A4505
	v_rcp_f32_e32 v6, v6                                       // 000000005510: 7E0C4506
	v_rcp_f32_e32 v7, v7                                       // 000000005514: 7E0E4507
	v_mul_f32_e32 v52, v52, v4                                 // 000000005518: 0A680934
	v_mul_f32_e32 v53, v53, v5                                 // 00000000551C: 0A6A0B35
	v_mul_f32_e32 v54, v54, v6                                 // 000000005520: 0A6C0D36
	v_mul_f32_e32 v55, v55, v7                                 // 000000005524: 0A6E0F37
	v_mul_f32_e32 v52, v52, v68                                // 000000005528: 0A688934
	v_mul_f32_e32 v53, v53, v69                                // 00000000552C: 0A6A8B35
	v_mul_f32_e32 v54, v54, v70                                // 000000005530: 0A6C8D36
	v_mul_f32_e32 v55, v55, v71                                // 000000005534: 0A6E8F37
	v_pk_mul_f32 v[4:5], v[56:57], v[56:57]                    // 000000005538: D3B14004 18027138
	v_pk_mul_f32 v[6:7], v[58:59], v[58:59]                    // 000000005540: D3B14006 1802753A
	v_pk_fma_f32 v[4:5], v[4:5], s[78:79], v[8:9]              // 000000005548: D3B04004 1C209D04
	v_pk_fma_f32 v[6:7], v[6:7], s[78:79], v[8:9]              // 000000005550: D3B04006 1C209D06
	v_pk_mul_f32 v[4:5], v[4:5], v[56:57]                      // 000000005558: D3B14004 18027104
	v_pk_mul_f32 v[6:7], v[6:7], v[58:59]                      // 000000005560: D3B14006 18027506
	v_pk_mul_f32 v[4:5], v[4:5], s[60:61]                      // 000000005568: D3B14004 18007904
	v_pk_mul_f32 v[6:7], v[6:7], s[60:61]                      // 000000005570: D3B14006 18007906
	v_exp_f32_e32 v4, v4                                       // 000000005578: 7E084104
	v_exp_f32_e32 v5, v5                                       // 00000000557C: 7E0A4105
	v_exp_f32_e32 v6, v6                                       // 000000005580: 7E0C4106
	v_exp_f32_e32 v7, v7                                       // 000000005584: 7E0E4107
	v_add_f32_e64 v4, v4, 1.0                                  // 000000005588: D1010004 0001E504
	v_add_f32_e64 v5, v5, 1.0                                  // 000000005590: D1010005 0001E505
	v_add_f32_e64 v6, v6, 1.0                                  // 000000005598: D1010006 0001E506
	v_add_f32_e64 v7, v7, 1.0                                  // 0000000055A0: D1010007 0001E507
	v_rcp_f32_e32 v4, v4                                       // 0000000055A8: 7E084504
	v_rcp_f32_e32 v5, v5                                       // 0000000055AC: 7E0A4505
	v_rcp_f32_e32 v6, v6                                       // 0000000055B0: 7E0C4506
	v_rcp_f32_e32 v7, v7                                       // 0000000055B4: 7E0E4507
	v_mul_f32_e32 v56, v56, v4                                 // 0000000055B8: 0A700938
	v_mul_f32_e32 v57, v57, v5                                 // 0000000055BC: 0A720B39
	v_mul_f32_e32 v58, v58, v6                                 // 0000000055C0: 0A740D3A
	v_mul_f32_e32 v59, v59, v7                                 // 0000000055C4: 0A760F3B
	v_mul_f32_e32 v56, v56, v72                                // 0000000055C8: 0A709138
	v_mul_f32_e32 v57, v57, v73                                // 0000000055CC: 0A729339
	v_mul_f32_e32 v58, v58, v74                                // 0000000055D0: 0A74953A
	v_mul_f32_e32 v59, v59, v75                                // 0000000055D4: 0A76973B
	s_branch label_0B7A                                        // 0000000055D8: BF820080

00000000000055dc <label_0AFA>:
	v_mul_f32_e64 v4, -v44, s6                                 // 0000000055DC: D1050004 20000D2C
	v_mul_f32_e64 v5, -v45, s6                                 // 0000000055E4: D1050005 20000D2D
	v_mul_f32_e64 v6, -v46, s6                                 // 0000000055EC: D1050006 20000D2E
	v_mul_f32_e64 v7, -v47, s6                                 // 0000000055F4: D1050007 20000D2F
	v_exp_f32_e32 v4, v4                                       // 0000000055FC: 7E084104
	v_exp_f32_e32 v5, v5                                       // 000000005600: 7E0A4105
	v_exp_f32_e32 v6, v6                                       // 000000005604: 7E0C4106
	v_exp_f32_e32 v7, v7                                       // 000000005608: 7E0E4107
	v_add_f32_e64 v4, v4, 1.0                                  // 00000000560C: D1010004 0001E504
	v_add_f32_e64 v5, v5, 1.0                                  // 000000005614: D1010005 0001E505
	v_add_f32_e64 v6, v6, 1.0                                  // 00000000561C: D1010006 0001E506
	v_add_f32_e64 v7, v7, 1.0                                  // 000000005624: D1010007 0001E507
	v_rcp_f32_e32 v4, v4                                       // 00000000562C: 7E084504
	v_rcp_f32_e32 v5, v5                                       // 000000005630: 7E0A4505
	v_rcp_f32_e32 v6, v6                                       // 000000005634: 7E0C4506
	v_rcp_f32_e32 v7, v7                                       // 000000005638: 7E0E4507
	v_mul_f32_e32 v44, v44, v4                                 // 00000000563C: 0A58092C
	v_mul_f32_e32 v45, v45, v5                                 // 000000005640: 0A5A0B2D
	v_mul_f32_e32 v46, v46, v6                                 // 000000005644: 0A5C0D2E
	v_mul_f32_e32 v47, v47, v7                                 // 000000005648: 0A5E0F2F
	v_mul_f32_e32 v44, v44, v60                                // 00000000564C: 0A58792C
	v_mul_f32_e32 v45, v45, v61                                // 000000005650: 0A5A7B2D
	v_mul_f32_e32 v46, v46, v62                                // 000000005654: 0A5C7D2E
	v_mul_f32_e32 v47, v47, v63                                // 000000005658: 0A5E7F2F
	v_mul_f32_e64 v4, -v48, s6                                 // 00000000565C: D1050004 20000D30
	v_mul_f32_e64 v5, -v49, s6                                 // 000000005664: D1050005 20000D31
	v_mul_f32_e64 v6, -v50, s6                                 // 00000000566C: D1050006 20000D32
	v_mul_f32_e64 v7, -v51, s6                                 // 000000005674: D1050007 20000D33
	v_exp_f32_e32 v4, v4                                       // 00000000567C: 7E084104
	v_exp_f32_e32 v5, v5                                       // 000000005680: 7E0A4105
	v_exp_f32_e32 v6, v6                                       // 000000005684: 7E0C4106
	v_exp_f32_e32 v7, v7                                       // 000000005688: 7E0E4107
	v_add_f32_e64 v4, v4, 1.0                                  // 00000000568C: D1010004 0001E504
	v_add_f32_e64 v5, v5, 1.0                                  // 000000005694: D1010005 0001E505
	v_add_f32_e64 v6, v6, 1.0                                  // 00000000569C: D1010006 0001E506
	v_add_f32_e64 v7, v7, 1.0                                  // 0000000056A4: D1010007 0001E507
	v_rcp_f32_e32 v4, v4                                       // 0000000056AC: 7E084504
	v_rcp_f32_e32 v5, v5                                       // 0000000056B0: 7E0A4505
	v_rcp_f32_e32 v6, v6                                       // 0000000056B4: 7E0C4506
	v_rcp_f32_e32 v7, v7                                       // 0000000056B8: 7E0E4507
	v_mul_f32_e32 v48, v48, v4                                 // 0000000056BC: 0A600930
	v_mul_f32_e32 v49, v49, v5                                 // 0000000056C0: 0A620B31
	v_mul_f32_e32 v50, v50, v6                                 // 0000000056C4: 0A640D32
	v_mul_f32_e32 v51, v51, v7                                 // 0000000056C8: 0A660F33
	v_mul_f32_e32 v48, v48, v64                                // 0000000056CC: 0A608130
	v_mul_f32_e32 v49, v49, v65                                // 0000000056D0: 0A628331
	v_mul_f32_e32 v50, v50, v66                                // 0000000056D4: 0A648532
	v_mul_f32_e32 v51, v51, v67                                // 0000000056D8: 0A668733
	v_mul_f32_e64 v4, -v52, s6                                 // 0000000056DC: D1050004 20000D34
	v_mul_f32_e64 v5, -v53, s6                                 // 0000000056E4: D1050005 20000D35
	v_mul_f32_e64 v6, -v54, s6                                 // 0000000056EC: D1050006 20000D36
	v_mul_f32_e64 v7, -v55, s6                                 // 0000000056F4: D1050007 20000D37
	v_exp_f32_e32 v4, v4                                       // 0000000056FC: 7E084104
	v_exp_f32_e32 v5, v5                                       // 000000005700: 7E0A4105
	v_exp_f32_e32 v6, v6                                       // 000000005704: 7E0C4106
	v_exp_f32_e32 v7, v7                                       // 000000005708: 7E0E4107
	v_add_f32_e64 v4, v4, 1.0                                  // 00000000570C: D1010004 0001E504
	v_add_f32_e64 v5, v5, 1.0                                  // 000000005714: D1010005 0001E505
	v_add_f32_e64 v6, v6, 1.0                                  // 00000000571C: D1010006 0001E506
	v_add_f32_e64 v7, v7, 1.0                                  // 000000005724: D1010007 0001E507
	v_rcp_f32_e32 v4, v4                                       // 00000000572C: 7E084504
	v_rcp_f32_e32 v5, v5                                       // 000000005730: 7E0A4505
	v_rcp_f32_e32 v6, v6                                       // 000000005734: 7E0C4506
	v_rcp_f32_e32 v7, v7                                       // 000000005738: 7E0E4507
	v_mul_f32_e32 v52, v52, v4                                 // 00000000573C: 0A680934
	v_mul_f32_e32 v53, v53, v5                                 // 000000005740: 0A6A0B35
	v_mul_f32_e32 v54, v54, v6                                 // 000000005744: 0A6C0D36
	v_mul_f32_e32 v55, v55, v7                                 // 000000005748: 0A6E0F37
	v_mul_f32_e32 v52, v52, v68                                // 00000000574C: 0A688934
	v_mul_f32_e32 v53, v53, v69                                // 000000005750: 0A6A8B35
	v_mul_f32_e32 v54, v54, v70                                // 000000005754: 0A6C8D36
	v_mul_f32_e32 v55, v55, v71                                // 000000005758: 0A6E8F37
	v_mul_f32_e64 v4, -v56, s6                                 // 00000000575C: D1050004 20000D38
	v_mul_f32_e64 v5, -v57, s6                                 // 000000005764: D1050005 20000D39
	v_mul_f32_e64 v6, -v58, s6                                 // 00000000576C: D1050006 20000D3A
	v_mul_f32_e64 v7, -v59, s6                                 // 000000005774: D1050007 20000D3B
	v_exp_f32_e32 v4, v4                                       // 00000000577C: 7E084104
	v_exp_f32_e32 v5, v5                                       // 000000005780: 7E0A4105
	v_exp_f32_e32 v6, v6                                       // 000000005784: 7E0C4106
	v_exp_f32_e32 v7, v7                                       // 000000005788: 7E0E4107
	v_add_f32_e64 v4, v4, 1.0                                  // 00000000578C: D1010004 0001E504
	v_add_f32_e64 v5, v5, 1.0                                  // 000000005794: D1010005 0001E505
	v_add_f32_e64 v6, v6, 1.0                                  // 00000000579C: D1010006 0001E506
	v_add_f32_e64 v7, v7, 1.0                                  // 0000000057A4: D1010007 0001E507
	v_rcp_f32_e32 v4, v4                                       // 0000000057AC: 7E084504
	v_rcp_f32_e32 v5, v5                                       // 0000000057B0: 7E0A4505
	v_rcp_f32_e32 v6, v6                                       // 0000000057B4: 7E0C4506
	v_rcp_f32_e32 v7, v7                                       // 0000000057B8: 7E0E4507
	v_mul_f32_e32 v56, v56, v4                                 // 0000000057BC: 0A700938
	v_mul_f32_e32 v57, v57, v5                                 // 0000000057C0: 0A720B39
	v_mul_f32_e32 v58, v58, v6                                 // 0000000057C4: 0A740D3A
	v_mul_f32_e32 v59, v59, v7                                 // 0000000057C8: 0A760F3B
	v_mul_f32_e32 v56, v56, v72                                // 0000000057CC: 0A709138
	v_mul_f32_e32 v57, v57, v73                                // 0000000057D0: 0A729339
	v_mul_f32_e32 v58, v58, v74                                // 0000000057D4: 0A74953A
	v_mul_f32_e32 v59, v59, v75                                // 0000000057D8: 0A76973B

00000000000057dc <label_0B7A>:
	s_cmp_eq_u32 s7, 0                                         // 0000000057DC: BF068007
	s_cbranch_scc0 label_0B84                                  // 0000000057E0: BF840008
	v_and_b32_e32 v4, 15, v0                                   // 0000000057E4: 2608008F
	v_lshlrev_b32_e32 v4, 2, v4                                // 0000000057E8: 24080882
	buffer_load_dword v28, v4, s[12:15], 0 offen               // 0000000057EC: E0501000 80031C04
	v_add_u32_e32 v4, 64, v4                                   // 0000000057F4: 680808C0
	buffer_load_dword v29, v4, s[12:15], 0 offen               // 0000000057F8: E0501000 80031D04
	v_add_u32_e32 v4, 64, v4                                   // 000000005800: 680808C0

0000000000005804 <label_0B84>:
	v_lshlrev_b32_e32 v4, 2, v0                                // 000000005804: 24080082
	s_mul_i32 s60, 0x100, s7                                   // 000000005808: 923C07FF 00000100
	v_add_u32_e32 v62, s60, v4                                 // 000000005810: 687C083C
	v_and_b32_e32 v4, 15, v0                                   // 000000005814: 2608008F
	v_lshlrev_b32_e32 v63, 2, v4                               // 000000005818: 247E0882
	s_waitcnt lgkmcnt(0)                                       // 00000000581C: BF8CC07F
	s_barrier                                                  // 000000005820: BF8A0000
	v_mov_b32_e32 v60, 0x358637bd                              // 000000005824: 7E7802FF 358637BD
	v_max3_f32 v60, |v44|, |v45|, v60                          // 00000000582C: D1D3033C 04F25B2C
	v_max3_f32 v60, |v46|, |v47|, v60                          // 000000005834: D1D3033C 04F25F2E
	v_max3_f32 v60, |v52|, |v53|, v60                          // 00000000583C: D1D3033C 04F26B34
	v_max3_f32 v60, |v54|, |v55|, v60                          // 000000005844: D1D3033C 04F26F36
	ds_write_b32 v62, v60                                      // 00000000584C: D81A0000 00003C3E
	s_waitcnt lgkmcnt(0)                                       // 000000005854: BF8CC07F
	s_barrier                                                  // 000000005858: BF8A0000
	ds_read_b32 v4, v63                                        // 00000000585C: D86C0000 0400003F
	ds_read_b32 v5, v63 offset:64                              // 000000005864: D86C0040 0500003F
	ds_read_b32 v6, v63 offset:128                             // 00000000586C: D86C0080 0600003F
	ds_read_b32 v7, v63 offset:192                             // 000000005874: D86C00C0 0700003F
	ds_read_b32 v8, v63 offset:256                             // 00000000587C: D86C0100 0800003F
	ds_read_b32 v9, v63 offset:320                             // 000000005884: D86C0140 0900003F
	ds_read_b32 v10, v63 offset:384                            // 00000000588C: D86C0180 0A00003F
	ds_read_b32 v11, v63 offset:448                            // 000000005894: D86C01C0 0B00003F
	ds_read_b32 v12, v63 offset:512                            // 00000000589C: D86C0200 0C00003F
	ds_read_b32 v13, v63 offset:576                            // 0000000058A4: D86C0240 0D00003F
	ds_read_b32 v14, v63 offset:640                            // 0000000058AC: D86C0280 0E00003F
	ds_read_b32 v15, v63 offset:704                            // 0000000058B4: D86C02C0 0F00003F
	ds_read_b32 v16, v63 offset:768                            // 0000000058BC: D86C0300 1000003F
	ds_read_b32 v17, v63 offset:832                            // 0000000058C4: D86C0340 1100003F
	ds_read_b32 v18, v63 offset:896                            // 0000000058CC: D86C0380 1200003F
	ds_read_b32 v19, v63 offset:960                            // 0000000058D4: D86C03C0 1300003F
	s_waitcnt lgkmcnt(0)                                       // 0000000058DC: BF8CC07F
	s_barrier                                                  // 0000000058E0: BF8A0000
	v_max3_f32 v60, |v4|, |v5|, v60                            // 0000000058E4: D1D3033C 04F20B04
	v_max3_f32 v60, |v6|, |v7|, v60                            // 0000000058EC: D1D3033C 04F20F06
	v_max3_f32 v60, |v8|, |v9|, v60                            // 0000000058F4: D1D3033C 04F21308
	v_max3_f32 v60, |v10|, |v11|, v60                          // 0000000058FC: D1D3033C 04F2170A
	v_max3_f32 v60, |v12|, |v13|, v60                          // 000000005904: D1D3033C 04F21B0C
	v_max3_f32 v60, |v14|, |v15|, v60                          // 00000000590C: D1D3033C 04F21F0E
	v_max3_f32 v60, |v16|, |v17|, v60                          // 000000005914: D1D3033C 04F22310
	v_max3_f32 v60, |v18|, |v19|, v60                          // 00000000591C: D1D3033C 04F22712
	v_rcp_f32_e32 v60, v60                                     // 000000005924: 7E78453C
	v_mov_b32_e32 v4, 0x43700000                               // 000000005928: 7E0802FF 43700000
	v_mul_f32_e32 v60, v4, v60                                 // 000000005930: 0A787904
	v_mov_b32_e32 v4, v60                                      // 000000005934: 7E08033C
	v_mov_b32_e32 v5, v4                                       // 000000005938: 7E0A0304
	v_pk_mul_f32 v[44:45], v[4:5], v[44:45]                    // 00000000593C: D3B1402C 18025904
	v_pk_mul_f32 v[46:47], v[4:5], v[46:47]                    // 000000005944: D3B1402E 18025D04
	v_cvt_pk_fp8_f32 v44, v44, v45                             // 00000000594C: D2A2002C 00025B2C
	v_cvt_pk_fp8_f32 v44, v46, v47 op_sel:[0,0,1]              // 000000005954: D2A2402C 00025F2E
	v_pk_mul_f32 v[52:53], v[4:5], v[52:53]                    // 00000000595C: D3B14034 18026904
	v_pk_mul_f32 v[54:55], v[4:5], v[54:55]                    // 000000005964: D3B14036 18026D04
	v_cvt_pk_fp8_f32 v52, v52, v53                             // 00000000596C: D2A20034 00026B34
	v_cvt_pk_fp8_f32 v52, v54, v55 op_sel:[0,0,1]              // 000000005974: D2A24034 00026F36
	v_rcp_f32_e32 v60, v60                                     // 00000000597C: 7E78453C
	v_mov_b32_e32 v61, 0x358637bd                              // 000000005980: 7E7A02FF 358637BD
	v_max3_f32 v61, |v48|, |v49|, v61                          // 000000005988: D1D3033D 04F66330
	v_max3_f32 v61, |v50|, |v51|, v61                          // 000000005990: D1D3033D 04F66732
	v_max3_f32 v61, |v56|, |v57|, v61                          // 000000005998: D1D3033D 04F67338
	v_max3_f32 v61, |v58|, |v59|, v61                          // 0000000059A0: D1D3033D 04F6773A
	ds_write_b32 v62, v61                                      // 0000000059A8: D81A0000 00003D3E
	s_waitcnt lgkmcnt(0)                                       // 0000000059B0: BF8CC07F
	s_barrier                                                  // 0000000059B4: BF8A0000
	ds_read_b32 v4, v63                                        // 0000000059B8: D86C0000 0400003F
	ds_read_b32 v5, v63 offset:64                              // 0000000059C0: D86C0040 0500003F
	ds_read_b32 v6, v63 offset:128                             // 0000000059C8: D86C0080 0600003F
	ds_read_b32 v7, v63 offset:192                             // 0000000059D0: D86C00C0 0700003F
	ds_read_b32 v8, v63 offset:256                             // 0000000059D8: D86C0100 0800003F
	ds_read_b32 v9, v63 offset:320                             // 0000000059E0: D86C0140 0900003F
	ds_read_b32 v10, v63 offset:384                            // 0000000059E8: D86C0180 0A00003F
	ds_read_b32 v11, v63 offset:448                            // 0000000059F0: D86C01C0 0B00003F
	ds_read_b32 v12, v63 offset:512                            // 0000000059F8: D86C0200 0C00003F
	ds_read_b32 v13, v63 offset:576                            // 000000005A00: D86C0240 0D00003F
	ds_read_b32 v14, v63 offset:640                            // 000000005A08: D86C0280 0E00003F
	ds_read_b32 v15, v63 offset:704                            // 000000005A10: D86C02C0 0F00003F
	ds_read_b32 v16, v63 offset:768                            // 000000005A18: D86C0300 1000003F
	ds_read_b32 v17, v63 offset:832                            // 000000005A20: D86C0340 1100003F
	ds_read_b32 v18, v63 offset:896                            // 000000005A28: D86C0380 1200003F
	ds_read_b32 v19, v63 offset:960                            // 000000005A30: D86C03C0 1300003F
	s_waitcnt lgkmcnt(0)                                       // 000000005A38: BF8CC07F
	s_barrier                                                  // 000000005A3C: BF8A0000
	v_max3_f32 v61, |v4|, |v5|, v61                            // 000000005A40: D1D3033D 04F60B04
	v_max3_f32 v61, |v6|, |v7|, v61                            // 000000005A48: D1D3033D 04F60F06
	v_max3_f32 v61, |v8|, |v9|, v61                            // 000000005A50: D1D3033D 04F61308
	v_max3_f32 v61, |v10|, |v11|, v61                          // 000000005A58: D1D3033D 04F6170A
	v_max3_f32 v61, |v12|, |v13|, v61                          // 000000005A60: D1D3033D 04F61B0C
	v_max3_f32 v61, |v14|, |v15|, v61                          // 000000005A68: D1D3033D 04F61F0E
	v_max3_f32 v61, |v16|, |v17|, v61                          // 000000005A70: D1D3033D 04F62310
	v_max3_f32 v61, |v18|, |v19|, v61                          // 000000005A78: D1D3033D 04F62712
	v_rcp_f32_e32 v61, v61                                     // 000000005A80: 7E7A453D
	v_mov_b32_e32 v4, 0x43700000                               // 000000005A84: 7E0802FF 43700000
	v_mul_f32_e32 v61, v4, v61                                 // 000000005A8C: 0A7A7B04
	v_mov_b32_e32 v4, v61                                      // 000000005A90: 7E08033D
	v_mov_b32_e32 v5, v4                                       // 000000005A94: 7E0A0304
	v_pk_mul_f32 v[48:49], v[4:5], v[48:49]                    // 000000005A98: D3B14030 18026104
	v_pk_mul_f32 v[50:51], v[4:5], v[50:51]                    // 000000005AA0: D3B14032 18026504
	v_cvt_pk_fp8_f32 v48, v48, v49                             // 000000005AA8: D2A20030 00026330
	v_cvt_pk_fp8_f32 v48, v50, v51 op_sel:[0,0,1]              // 000000005AB0: D2A24030 00026732
	v_pk_mul_f32 v[56:57], v[4:5], v[56:57]                    // 000000005AB8: D3B14038 18027104
	v_pk_mul_f32 v[58:59], v[4:5], v[58:59]                    // 000000005AC0: D3B1403A 18027504
	v_cvt_pk_fp8_f32 v56, v56, v57                             // 000000005AC8: D2A20038 00027338
	v_cvt_pk_fp8_f32 v56, v58, v59 op_sel:[0,0,1]              // 000000005AD0: D2A24038 0002773A
	v_rcp_f32_e32 v61, v61                                     // 000000005AD8: 7E7A453D
	v_lshrrev_b32_e32 v4, 5, v0                                // 000000005ADC: 20080085
	v_mul_lo_u32 v20, 34, v4                                   // 000000005AE0: D2850014 000208A2
	v_and_b32_e32 v4, 31, v0                                   // 000000005AE8: 2608009F
	v_lshrrev_b32_e32 v5, 4, v4                                // 000000005AEC: 200A0884
	v_add_u32_e32 v20, v5, v20                                 // 000000005AF0: 68282905
	v_and_b32_e32 v4, 15, v0                                   // 000000005AF4: 2608008F
	v_mul_lo_u32 v5, 2, v4                                     // 000000005AF8: D2850005 00020882
	v_add_u32_e32 v20, v5, v20                                 // 000000005B00: 68282905
	s_mul_i32 s60, s7, 0x44                                    // 000000005B04: 923CFF07 00000044
	v_add_u32_e32 v20, s60, v20                                // 000000005B0C: 6828283C
	v_lshlrev_b32_e32 v20, 2, v20                              // 000000005B10: 24282882
	ds_write_b32 v20, v44                                      // 000000005B14: D81A0000 00002C14
	ds_write_b32 v20, v48 offset:2176                          // 000000005B1C: D81A0880 00003014
	ds_write_b32 v20, v52 offset:1088                          // 000000005B24: D81A0440 00003414
	ds_write_b32 v20, v56 offset:3264                          // 000000005B2C: D81A0CC0 00003814
	v_lshrrev_b32_e32 v4, 5, v0                                // 000000005B34: 20080085
	v_xor_b32_e32 v5, 1, v4                                    // 000000005B38: 2A0A0881
	s_mul_i32 s60, s65, 1                                      // 000000005B3C: 923C8141
	s_cmp_eq_u32 s88, 0                                        // 000000005B40: BF068058
	s_cselect_b32 s61, 1, 8                                    // 000000005B44: 853D8881
	s_mul_i32 s60, s61, s60                                    // 000000005B48: 923C3C3D
	v_readlane_b32 s82, v3, 0                                  // 000000005B4C: D2890052 00010103
	s_lshr_b32 s61, s82, 24                                    // 000000005B54: 8F3D9852
	s_and_b32 s82, s82, 0xffffff                               // 000000005B58: 8652FF52 00FFFFFF
	s_mul_i32 s82, s82, s71                                    // 000000005B60: 92524752
	s_mul_i32 s61, s60, s61                                    // 000000005B64: 923D3D3C
	s_add_u32 s82, s82, s61                                    // 000000005B68: 80523D52
	v_mul_lo_u32 v6, v5, s82                                   // 000000005B6C: D2850006 0000A505
	v_readlane_b32 s82, v3, 1                                  // 000000005B74: D2890052 00010303
	s_lshr_b32 s61, s82, 24                                    // 000000005B7C: 8F3D9852
	s_and_b32 s82, s82, 0xffffff                               // 000000005B80: 8652FF52 00FFFFFF
	s_mul_i32 s82, s82, s71                                    // 000000005B88: 92524752
	s_mul_i32 s61, s60, s61                                    // 000000005B8C: 923D3D3C
	s_add_u32 s82, s82, s61                                    // 000000005B90: 80523D52
	v_mul_lo_u32 v7, v4, s82                                   // 000000005B94: D2850007 0000A504
	v_add_u32_e32 v36, v6, v7                                  // 000000005B9C: 68480F06
	v_readlane_b32 s82, v3, 2                                  // 000000005BA0: D2890052 00010503
	s_lshr_b32 s61, s82, 24                                    // 000000005BA8: 8F3D9852
	s_and_b32 s82, s82, 0xffffff                               // 000000005BAC: 8652FF52 00FFFFFF
	s_mul_i32 s82, s82, s71                                    // 000000005BB4: 92524752
	s_mul_i32 s61, s60, s61                                    // 000000005BB8: 923D3D3C
	s_add_u32 s82, s82, s61                                    // 000000005BBC: 80523D52
	v_mul_lo_u32 v6, v5, s82                                   // 000000005BC0: D2850006 0000A505
	v_readlane_b32 s82, v3, 3                                  // 000000005BC8: D2890052 00010703
	s_lshr_b32 s61, s82, 24                                    // 000000005BD0: 8F3D9852
	s_and_b32 s82, s82, 0xffffff                               // 000000005BD4: 8652FF52 00FFFFFF
	s_mul_i32 s82, s82, s71                                    // 000000005BDC: 92524752
	s_mul_i32 s61, s60, s61                                    // 000000005BE0: 923D3D3C
	s_add_u32 s82, s82, s61                                    // 000000005BE4: 80523D52
	v_mul_lo_u32 v7, v4, s82                                   // 000000005BE8: D2850007 0000A504
	v_add_u32_e32 v37, v6, v7                                  // 000000005BF0: 684A0F06
	v_readlane_b32 s82, v3, 4                                  // 000000005BF4: D2890052 00010903
	s_lshr_b32 s61, s82, 24                                    // 000000005BFC: 8F3D9852
	s_and_b32 s82, s82, 0xffffff                               // 000000005C00: 8652FF52 00FFFFFF
	s_mul_i32 s82, s82, s71                                    // 000000005C08: 92524752
	s_mul_i32 s61, s60, s61                                    // 000000005C0C: 923D3D3C
	s_add_u32 s82, s82, s61                                    // 000000005C10: 80523D52
	v_mul_lo_u32 v6, v5, s82                                   // 000000005C14: D2850006 0000A505
	v_readlane_b32 s82, v3, 5                                  // 000000005C1C: D2890052 00010B03
	s_lshr_b32 s61, s82, 24                                    // 000000005C24: 8F3D9852
	s_and_b32 s82, s82, 0xffffff                               // 000000005C28: 8652FF52 00FFFFFF
	s_mul_i32 s82, s82, s71                                    // 000000005C30: 92524752
	s_mul_i32 s61, s60, s61                                    // 000000005C34: 923D3D3C
	s_add_u32 s82, s82, s61                                    // 000000005C38: 80523D52
	v_mul_lo_u32 v7, v4, s82                                   // 000000005C3C: D2850007 0000A504
	v_add_u32_e32 v38, v6, v7                                  // 000000005C44: 684C0F06
	v_readlane_b32 s82, v3, 6                                  // 000000005C48: D2890052 00010D03
	s_lshr_b32 s61, s82, 24                                    // 000000005C50: 8F3D9852
	s_and_b32 s82, s82, 0xffffff                               // 000000005C54: 8652FF52 00FFFFFF
	s_mul_i32 s82, s82, s71                                    // 000000005C5C: 92524752
	s_mul_i32 s61, s60, s61                                    // 000000005C60: 923D3D3C
	s_add_u32 s82, s82, s61                                    // 000000005C64: 80523D52
	v_mul_lo_u32 v6, v5, s82                                   // 000000005C68: D2850006 0000A505
	v_readlane_b32 s82, v3, 7                                  // 000000005C70: D2890052 00010F03
	s_lshr_b32 s61, s82, 24                                    // 000000005C78: 8F3D9852
	s_and_b32 s82, s82, 0xffffff                               // 000000005C7C: 8652FF52 00FFFFFF
	s_mul_i32 s82, s82, s71                                    // 000000005C84: 92524752
	s_mul_i32 s61, s60, s61                                    // 000000005C88: 923D3D3C
	s_add_u32 s82, s82, s61                                    // 000000005C8C: 80523D52
	v_mul_lo_u32 v7, v4, s82                                   // 000000005C90: D2850007 0000A504
	v_add_u32_e32 v39, v6, v7                                  // 000000005C98: 684E0F06
	v_and_b32_e32 v4, 31, v0                                   // 000000005C9C: 2608009F
	v_lshrrev_b32_e32 v4, 1, v4                                // 000000005CA0: 20080881
	s_cmp_eq_u32 s88, 0                                        // 000000005CA4: BF068058
	s_cselect_b32 s61, 2, 4                                    // 000000005CA8: 853D8482
	v_mul_lo_u32 v4, v4, s61                                   // 000000005CAC: D2850004 00007B04
	v_and_b32_e64 v5, v0, 1                                    // 000000005CB4: D1130005 00010300
	v_add_u32_e32 v4, v4, v5                                   // 000000005CBC: 68080B04
	v_lshlrev_b32_e32 v4, 2, v4                                // 000000005CC0: 24080882
	v_add_u32_e32 v36, v36, v4                                 // 000000005CC4: 68480924
	v_add_u32_e32 v37, v37, v4                                 // 000000005CC8: 684A0925
	v_add_u32_e32 v38, v38, v4                                 // 000000005CCC: 684C0926
	v_add_u32_e32 v39, v39, v4                                 // 000000005CD0: 684E0927
	s_waitcnt lgkmcnt(0)                                       // 000000005CD4: BF8CC07F
	s_barrier                                                  // 000000005CD8: BF8A0000
	ds_read_b32 v44, v21                                       // 000000005CDC: D86C0000 2C000015
	ds_read_b32 v45, v21 offset:64                             // 000000005CE4: D86C0040 2D000015
	ds_read_b32 v46, v21 offset:2176                           // 000000005CEC: D86C0880 2E000015
	ds_read_b32 v47, v21 offset:2240                           // 000000005CF4: D86C08C0 2F000015
	s_waitcnt lgkmcnt(0)                                       // 000000005CFC: BF8CC07F
	s_mov_b32 s36, -1                                          // 000000005D00: BEA400C1
	s_mov_b32 s37, -1                                          // 000000005D04: BEA500C1
	v_mov_b32_e32 v7, 0                                        // 000000005D08: 7E0E0280
	s_or_b32 s9, s9, 0x40000                                   // 000000005D0C: 8709FF09 00040000
	s_mov_b64 exec, s[36:37]                                   // 000000005D14: BEFE0124
	v_mov_b32_e32 v6, v36                                      // 000000005D18: 7E0C0324
	s_mov_b64 s[60:61], 0                                      // 000000005D1C: BEBC0180
	v_readlane_b32 s82, v3, 0                                  // 000000005D20: D2890052 00010103
	s_and_b32 s82, s82, 0xffffff                               // 000000005D28: 8652FF52 00FFFFFF
	s_cmp_lt_u32 s82, s66                                      // 000000005D30: BF0A4252
	s_cselect_b32 s20, s36, s60                                // 000000005D34: 85143C24
	v_readlane_b32 s82, v3, 1                                  // 000000005D38: D2890052 00010303
	s_and_b32 s82, s82, 0xffffff                               // 000000005D40: 8652FF52 00FFFFFF
	s_cmp_lt_u32 s82, s66                                      // 000000005D48: BF0A4252
	s_cselect_b32 s21, s36, s60                                // 000000005D4C: 85153C24
	s_mov_b64 exec, s[20:21]                                   // 000000005D50: BEFE0114
	buffer_store_dword v44, v6, s[8:11], 0 offen               // 000000005D54: E0701000 80022C06
	s_mov_b64 exec, s[36:37]                                   // 000000005D5C: BEFE0124
	v_mov_b32_e32 v6, v37                                      // 000000005D60: 7E0C0325
	s_mov_b64 s[60:61], 0                                      // 000000005D64: BEBC0180
	v_readlane_b32 s82, v3, 2                                  // 000000005D68: D2890052 00010503
	s_and_b32 s82, s82, 0xffffff                               // 000000005D70: 8652FF52 00FFFFFF
	s_cmp_lt_u32 s82, s66                                      // 000000005D78: BF0A4252
	s_cselect_b32 s20, s36, s60                                // 000000005D7C: 85143C24
	v_readlane_b32 s82, v3, 3                                  // 000000005D80: D2890052 00010703
	s_and_b32 s82, s82, 0xffffff                               // 000000005D88: 8652FF52 00FFFFFF
	s_cmp_lt_u32 s82, s66                                      // 000000005D90: BF0A4252
	s_cselect_b32 s21, s36, s60                                // 000000005D94: 85153C24
	s_mov_b64 exec, s[20:21]                                   // 000000005D98: BEFE0114
	buffer_store_dword v45, v6, s[8:11], 0 offen               // 000000005D9C: E0701000 80022D06
	s_mov_b64 exec, s[36:37]                                   // 000000005DA4: BEFE0124
	v_mov_b32_e32 v6, v38                                      // 000000005DA8: 7E0C0326
	s_mov_b64 s[60:61], 0                                      // 000000005DAC: BEBC0180
	v_readlane_b32 s82, v3, 4                                  // 000000005DB0: D2890052 00010903
	s_and_b32 s82, s82, 0xffffff                               // 000000005DB8: 8652FF52 00FFFFFF
	s_cmp_lt_u32 s82, s66                                      // 000000005DC0: BF0A4252
	s_cselect_b32 s20, s36, s60                                // 000000005DC4: 85143C24
	v_readlane_b32 s82, v3, 5                                  // 000000005DC8: D2890052 00010B03
	s_and_b32 s82, s82, 0xffffff                               // 000000005DD0: 8652FF52 00FFFFFF
	s_cmp_lt_u32 s82, s66                                      // 000000005DD8: BF0A4252
	s_cselect_b32 s21, s36, s60                                // 000000005DDC: 85153C24
	s_mov_b64 exec, s[20:21]                                   // 000000005DE0: BEFE0114
	buffer_store_dword v46, v6, s[8:11], 0 offen               // 000000005DE4: E0701000 80022E06
	s_mov_b64 exec, s[36:37]                                   // 000000005DEC: BEFE0124
	v_mov_b32_e32 v6, v39                                      // 000000005DF0: 7E0C0327
	s_mov_b64 s[60:61], 0                                      // 000000005DF4: BEBC0180
	v_readlane_b32 s82, v3, 6                                  // 000000005DF8: D2890052 00010D03
	s_and_b32 s82, s82, 0xffffff                               // 000000005E00: 8652FF52 00FFFFFF
	s_cmp_lt_u32 s82, s66                                      // 000000005E08: BF0A4252
	s_cselect_b32 s20, s36, s60                                // 000000005E0C: 85143C24
	v_readlane_b32 s82, v3, 7                                  // 000000005E10: D2890052 00010F03
	s_and_b32 s82, s82, 0xffffff                               // 000000005E18: 8652FF52 00FFFFFF
	s_cmp_lt_u32 s82, s66                                      // 000000005E20: BF0A4252
	s_cselect_b32 s21, s36, s60                                // 000000005E24: 85153C24
	s_mov_b64 exec, s[20:21]                                   // 000000005E28: BEFE0114
	buffer_store_dword v47, v6, s[8:11], 0 offen               // 000000005E2C: E0701000 80022F06
	s_mov_b64 exec, s[36:37]                                   // 000000005E34: BEFE0124
	s_cmp_eq_u32 s7, 0                                         // 000000005E38: BF068007
	s_cbranch_scc0 label_0F5A                                  // 000000005E3C: BF840247
	s_waitcnt vmcnt(4)                                         // 000000005E40: BF8C0F74
	s_mov_b32 s8, s90                                          // 000000005E44: BE88005A
	s_mov_b32 s9, s91                                          // 000000005E48: BE89005B
	s_mul_i32 s60, s66, s71                                    // 000000005E4C: 923C4742
	s_add_u32 s8, s60, s8                                      // 000000005E50: 8008083C
	s_addc_u32 s9, 0, s9                                       // 000000005E54: 82090980
	s_lshr_b32 s71, s71, 5                                     // 000000005E58: 8F478547
	s_mul_i32 s60, s66, s71                                    // 000000005E5C: 923C4742
	s_mov_b32 s10, s60                                         // 000000005E60: BE8A003C
	s_lshr_b32 s61, s65, 5                                     // 000000005E64: 8F3D8541
	s_mul_i32 s60, s2, 4                                       // 000000005E68: 923C8402
	v_lshrrev_b32_e32 v4, 24, v28                              // 000000005E6C: 20083898
	v_mul_lo_u32 v4, s61, v4                                   // 000000005E70: D2850004 0002083D
	v_and_b32_e32 v28, 0xffffff, v28                           // 000000005E78: 263838FF 00FFFFFF
	v_mul_lo_u32 v28, s71, v28                                 // 000000005E80: D285001C 00023847
	v_add_u32_e32 v28, v4, v28                                 // 000000005E88: 68383904
	v_add_u32_e32 v28, s60, v28                                // 000000005E8C: 6838383C
	v_lshrrev_b32_e32 v4, 24, v29                              // 000000005E90: 20083A98
	v_mul_lo_u32 v4, s61, v4                                   // 000000005E94: D2850004 0002083D
	v_and_b32_e32 v29, 0xffffff, v29                           // 000000005E9C: 263A3AFF 00FFFFFF
	v_mul_lo_u32 v29, s71, v29                                 // 000000005EA4: D285001D 00023A47
	v_add_u32_e32 v29, v4, v29                                 // 000000005EAC: 683A3B04
	v_add_u32_e32 v29, s60, v29                                // 000000005EB0: 683A3A3C
	s_mov_b64 exec, 0xffff                                     // 000000005EB4: BEFE01FF 0000FFFF
	buffer_store_dword v60, v28, s[8:11], 0 offen              // 000000005EBC: E0701000 80023C1C
	buffer_store_dword v61, v29, s[8:11], 0 offen              // 000000005EC4: E0701000 80023D1D
	s_mov_b64 exec, s[36:37]                                   // 000000005ECC: BEFE0124
	s_branch label_0F5A                                        // 000000005ED0: BF820222

0000000000005ed4 <label_0D38>:
	ds_write_b64 v20, v[44:45]                                 // 000000005ED4: D89A0000 00002C14
	ds_write_b64 v20, v[48:49] offset:4352                     // 000000005EDC: D89A1100 00003014
	ds_write_b64 v20, v[52:53] offset:2176                     // 000000005EE4: D89A0880 00003414
	ds_write_b64 v20, v[56:57] offset:6528                     // 000000005EEC: D89A1980 00003814
	v_lshrrev_b32_e32 v4, 5, v0                                // 000000005EF4: 20080085
	v_xor_b32_e32 v5, 1, v4                                    // 000000005EF8: 2A0A0881
	s_mul_i32 s60, s65, 1                                      // 000000005EFC: 923C8141
	s_cmp_eq_u32 s88, 0                                        // 000000005F00: BF068058
	s_cselect_b32 s61, 1, 8                                    // 000000005F04: 853D8881
	s_mul_i32 s60, s61, s60                                    // 000000005F08: 923C3C3D
	v_readlane_b32 s82, v3, 0                                  // 000000005F0C: D2890052 00010103
	s_lshr_b32 s61, s82, 24                                    // 000000005F14: 8F3D9852
	s_and_b32 s82, s82, 0xffffff                               // 000000005F18: 8652FF52 00FFFFFF
	s_mul_i32 s82, s82, s71                                    // 000000005F20: 92524752
	s_mul_i32 s61, s60, s61                                    // 000000005F24: 923D3D3C
	s_add_u32 s82, s82, s61                                    // 000000005F28: 80523D52
	v_mul_lo_u32 v6, v5, s82                                   // 000000005F2C: D2850006 0000A505
	v_readlane_b32 s82, v3, 1                                  // 000000005F34: D2890052 00010303
	s_lshr_b32 s61, s82, 24                                    // 000000005F3C: 8F3D9852
	s_and_b32 s82, s82, 0xffffff                               // 000000005F40: 8652FF52 00FFFFFF
	s_mul_i32 s82, s82, s71                                    // 000000005F48: 92524752
	s_mul_i32 s61, s60, s61                                    // 000000005F4C: 923D3D3C
	s_add_u32 s82, s82, s61                                    // 000000005F50: 80523D52
	v_mul_lo_u32 v7, v4, s82                                   // 000000005F54: D2850007 0000A504
	v_add_u32_e32 v36, v6, v7                                  // 000000005F5C: 68480F06
	v_readlane_b32 s82, v3, 2                                  // 000000005F60: D2890052 00010503
	s_lshr_b32 s61, s82, 24                                    // 000000005F68: 8F3D9852
	s_and_b32 s82, s82, 0xffffff                               // 000000005F6C: 8652FF52 00FFFFFF
	s_mul_i32 s82, s82, s71                                    // 000000005F74: 92524752
	s_mul_i32 s61, s60, s61                                    // 000000005F78: 923D3D3C
	s_add_u32 s82, s82, s61                                    // 000000005F7C: 80523D52
	v_mul_lo_u32 v6, v5, s82                                   // 000000005F80: D2850006 0000A505
	v_readlane_b32 s82, v3, 3                                  // 000000005F88: D2890052 00010703
	s_lshr_b32 s61, s82, 24                                    // 000000005F90: 8F3D9852
	s_and_b32 s82, s82, 0xffffff                               // 000000005F94: 8652FF52 00FFFFFF
	s_mul_i32 s82, s82, s71                                    // 000000005F9C: 92524752
	s_mul_i32 s61, s60, s61                                    // 000000005FA0: 923D3D3C
	s_add_u32 s82, s82, s61                                    // 000000005FA4: 80523D52
	v_mul_lo_u32 v7, v4, s82                                   // 000000005FA8: D2850007 0000A504
	v_add_u32_e32 v37, v6, v7                                  // 000000005FB0: 684A0F06
	v_readlane_b32 s82, v3, 4                                  // 000000005FB4: D2890052 00010903
	s_lshr_b32 s61, s82, 24                                    // 000000005FBC: 8F3D9852
	s_and_b32 s82, s82, 0xffffff                               // 000000005FC0: 8652FF52 00FFFFFF
	s_mul_i32 s82, s82, s71                                    // 000000005FC8: 92524752
	s_mul_i32 s61, s60, s61                                    // 000000005FCC: 923D3D3C
	s_add_u32 s82, s82, s61                                    // 000000005FD0: 80523D52
	v_mul_lo_u32 v6, v5, s82                                   // 000000005FD4: D2850006 0000A505
	v_readlane_b32 s82, v3, 5                                  // 000000005FDC: D2890052 00010B03
	s_lshr_b32 s61, s82, 24                                    // 000000005FE4: 8F3D9852
	s_and_b32 s82, s82, 0xffffff                               // 000000005FE8: 8652FF52 00FFFFFF
	s_mul_i32 s82, s82, s71                                    // 000000005FF0: 92524752
	s_mul_i32 s61, s60, s61                                    // 000000005FF4: 923D3D3C
	s_add_u32 s82, s82, s61                                    // 000000005FF8: 80523D52
	v_mul_lo_u32 v7, v4, s82                                   // 000000005FFC: D2850007 0000A504
	v_add_u32_e32 v38, v6, v7                                  // 000000006004: 684C0F06
	v_readlane_b32 s82, v3, 6                                  // 000000006008: D2890052 00010D03
	s_lshr_b32 s61, s82, 24                                    // 000000006010: 8F3D9852
	s_and_b32 s82, s82, 0xffffff                               // 000000006014: 8652FF52 00FFFFFF
	s_mul_i32 s82, s82, s71                                    // 00000000601C: 92524752
	s_mul_i32 s61, s60, s61                                    // 000000006020: 923D3D3C
	s_add_u32 s82, s82, s61                                    // 000000006024: 80523D52
	v_mul_lo_u32 v6, v5, s82                                   // 000000006028: D2850006 0000A505
	v_readlane_b32 s82, v3, 7                                  // 000000006030: D2890052 00010F03
	s_lshr_b32 s61, s82, 24                                    // 000000006038: 8F3D9852
	s_and_b32 s82, s82, 0xffffff                               // 00000000603C: 8652FF52 00FFFFFF
	s_mul_i32 s82, s82, s71                                    // 000000006044: 92524752
	s_mul_i32 s61, s60, s61                                    // 000000006048: 923D3D3C
	s_add_u32 s82, s82, s61                                    // 00000000604C: 80523D52
	v_mul_lo_u32 v7, v4, s82                                   // 000000006050: D2850007 0000A504
	v_add_u32_e32 v39, v6, v7                                  // 000000006058: 684E0F06
	v_and_b32_e32 v4, 31, v0                                   // 00000000605C: 2608009F
	v_lshrrev_b32_e32 v4, 1, v4                                // 000000006060: 20080881
	s_cmp_eq_u32 s88, 0                                        // 000000006064: BF068058
	s_cselect_b32 s61, 2, 4                                    // 000000006068: 853D8482
	v_mul_lo_u32 v4, v4, s61                                   // 00000000606C: D2850004 00007B04
	v_and_b32_e64 v5, v0, 1                                    // 000000006074: D1130005 00010300
	v_add_u32_e32 v4, v4, v5                                   // 00000000607C: 68080B04
	v_lshlrev_b32_e32 v4, 2, v4                                // 000000006080: 24080882
	v_add_u32_e32 v36, v36, v4                                 // 000000006084: 68480924
	v_add_u32_e32 v37, v37, v4                                 // 000000006088: 684A0925
	v_add_u32_e32 v38, v38, v4                                 // 00000000608C: 684C0926
	v_add_u32_e32 v39, v39, v4                                 // 000000006090: 684E0927
	s_waitcnt lgkmcnt(0)                                       // 000000006094: BF8CC07F
	s_barrier                                                  // 000000006098: BF8A0000
	ds_read_b32 v44, v21                                       // 00000000609C: D86C0000 2C000015
	ds_read_b32 v45, v21 offset:64                             // 0000000060A4: D86C0040 2D000015
	ds_read_b32 v48, v21 offset:2176                           // 0000000060AC: D86C0880 30000015
	ds_read_b32 v49, v21 offset:2240                           // 0000000060B4: D86C08C0 31000015
	ds_read_b32 v52, v21 offset:4352                           // 0000000060BC: D86C1100 34000015
	ds_read_b32 v53, v21 offset:4416                           // 0000000060C4: D86C1140 35000015
	ds_read_b32 v56, v21 offset:6528                           // 0000000060CC: D86C1980 38000015
	ds_read_b32 v57, v21 offset:6592                           // 0000000060D4: D86C19C0 39000015
	s_waitcnt lgkmcnt(0)                                       // 0000000060DC: BF8CC07F
	s_mov_b32 s36, -1                                          // 0000000060E0: BEA400C1
	s_mov_b32 s37, -1                                          // 0000000060E4: BEA500C1
	v_mov_b32_e32 v7, 0                                        // 0000000060E8: 7E0E0280
	s_mov_b64 exec, s[36:37]                                   // 0000000060EC: BEFE0124
	v_mov_b32_e32 v6, v36                                      // 0000000060F0: 7E0C0324
	s_mov_b64 s[60:61], 0                                      // 0000000060F4: BEBC0180
	v_readlane_b32 s82, v3, 0                                  // 0000000060F8: D2890052 00010103
	s_and_b32 s82, s82, 0xffffff                               // 000000006100: 8652FF52 00FFFFFF
	s_cmp_lt_u32 s82, s66                                      // 000000006108: BF0A4252
	s_cselect_b32 s20, s36, s60                                // 00000000610C: 85143C24
	v_readlane_b32 s82, v3, 1                                  // 000000006110: D2890052 00010303
	s_and_b32 s82, s82, 0xffffff                               // 000000006118: 8652FF52 00FFFFFF
	s_cmp_lt_u32 s82, s66                                      // 000000006120: BF0A4252
	s_cselect_b32 s21, s36, s60                                // 000000006124: 85153C24
	s_mov_b64 exec, s[20:21]                                   // 000000006128: BEFE0114
	global_atomic_add_f32 v6, v44, s[8:9]                      // 00000000612C: DD348000 00082C06
	global_atomic_add_f32 v6, v48, s[8:9] offset:256           // 000000006134: DD348100 00083006
	s_mov_b64 exec, s[36:37]                                   // 00000000613C: BEFE0124
	v_mov_b32_e32 v6, v37                                      // 000000006140: 7E0C0325
	s_mov_b64 s[60:61], 0                                      // 000000006144: BEBC0180
	v_readlane_b32 s82, v3, 2                                  // 000000006148: D2890052 00010503
	s_and_b32 s82, s82, 0xffffff                               // 000000006150: 8652FF52 00FFFFFF
	s_cmp_lt_u32 s82, s66                                      // 000000006158: BF0A4252
	s_cselect_b32 s20, s36, s60                                // 00000000615C: 85143C24
	v_readlane_b32 s82, v3, 3                                  // 000000006160: D2890052 00010703
	s_and_b32 s82, s82, 0xffffff                               // 000000006168: 8652FF52 00FFFFFF
	s_cmp_lt_u32 s82, s66                                      // 000000006170: BF0A4252
	s_cselect_b32 s21, s36, s60                                // 000000006174: 85153C24
	s_mov_b64 exec, s[20:21]                                   // 000000006178: BEFE0114
	global_atomic_add_f32 v6, v45, s[8:9]                      // 00000000617C: DD348000 00082D06
	global_atomic_add_f32 v6, v49, s[8:9] offset:256           // 000000006184: DD348100 00083106
	s_mov_b64 exec, s[36:37]                                   // 00000000618C: BEFE0124
	v_mov_b32_e32 v6, v38                                      // 000000006190: 7E0C0326
	s_mov_b64 s[60:61], 0                                      // 000000006194: BEBC0180
	v_readlane_b32 s82, v3, 4                                  // 000000006198: D2890052 00010903
	s_and_b32 s82, s82, 0xffffff                               // 0000000061A0: 8652FF52 00FFFFFF
	s_cmp_lt_u32 s82, s66                                      // 0000000061A8: BF0A4252
	s_cselect_b32 s20, s36, s60                                // 0000000061AC: 85143C24
	v_readlane_b32 s82, v3, 5                                  // 0000000061B0: D2890052 00010B03
	s_and_b32 s82, s82, 0xffffff                               // 0000000061B8: 8652FF52 00FFFFFF
	s_cmp_lt_u32 s82, s66                                      // 0000000061C0: BF0A4252
	s_cselect_b32 s21, s36, s60                                // 0000000061C4: 85153C24
	s_mov_b64 exec, s[20:21]                                   // 0000000061C8: BEFE0114
	global_atomic_add_f32 v6, v52, s[8:9]                      // 0000000061CC: DD348000 00083406
	global_atomic_add_f32 v6, v56, s[8:9] offset:256           // 0000000061D4: DD348100 00083806
	s_mov_b64 exec, s[36:37]                                   // 0000000061DC: BEFE0124
	v_mov_b32_e32 v6, v39                                      // 0000000061E0: 7E0C0327
	s_mov_b64 s[60:61], 0                                      // 0000000061E4: BEBC0180
	v_readlane_b32 s82, v3, 6                                  // 0000000061E8: D2890052 00010D03
	s_and_b32 s82, s82, 0xffffff                               // 0000000061F0: 8652FF52 00FFFFFF
	s_cmp_lt_u32 s82, s66                                      // 0000000061F8: BF0A4252
	s_cselect_b32 s20, s36, s60                                // 0000000061FC: 85143C24
	v_readlane_b32 s82, v3, 7                                  // 000000006200: D2890052 00010F03
	s_and_b32 s82, s82, 0xffffff                               // 000000006208: 8652FF52 00FFFFFF
	s_cmp_lt_u32 s82, s66                                      // 000000006210: BF0A4252
	s_cselect_b32 s21, s36, s60                                // 000000006214: 85153C24
	s_mov_b64 exec, s[20:21]                                   // 000000006218: BEFE0114
	global_atomic_add_f32 v6, v53, s[8:9]                      // 00000000621C: DD348000 00083506
	global_atomic_add_f32 v6, v57, s[8:9] offset:256           // 000000006224: DD348100 00083906
	s_mov_b64 exec, s[36:37]                                   // 00000000622C: BEFE0124
	ds_write_b64 v20, v[46:47]                                 // 000000006230: D89A0000 00002E14
	ds_write_b64 v20, v[50:51] offset:4352                     // 000000006238: D89A1100 00003214
	ds_write_b64 v20, v[54:55] offset:2176                     // 000000006240: D89A0880 00003614
	ds_write_b64 v20, v[58:59] offset:6528                     // 000000006248: D89A1980 00003A14
	s_waitcnt lgkmcnt(0)                                       // 000000006250: BF8CC07F
	s_barrier                                                  // 000000006254: BF8A0000
	ds_read_b32 v46, v21                                       // 000000006258: D86C0000 2E000015
	ds_read_b32 v47, v21 offset:64                             // 000000006260: D86C0040 2F000015
	ds_read_b32 v50, v21 offset:2176                           // 000000006268: D86C0880 32000015
	ds_read_b32 v51, v21 offset:2240                           // 000000006270: D86C08C0 33000015
	ds_read_b32 v54, v21 offset:4352                           // 000000006278: D86C1100 36000015
	ds_read_b32 v55, v21 offset:4416                           // 000000006280: D86C1140 37000015
	ds_read_b32 v58, v21 offset:6528                           // 000000006288: D86C1980 3A000015
	ds_read_b32 v59, v21 offset:6592                           // 000000006290: D86C19C0 3B000015
	s_waitcnt lgkmcnt(0)                                       // 000000006298: BF8CC07F
	v_mov_b32_e32 v7, 0                                        // 00000000629C: 7E0E0280
	s_mov_b64 exec, s[36:37]                                   // 0000000062A0: BEFE0124
	v_mov_b32_e32 v6, v36                                      // 0000000062A4: 7E0C0324
	s_mov_b64 s[60:61], 0                                      // 0000000062A8: BEBC0180
	v_readlane_b32 s82, v3, 0                                  // 0000000062AC: D2890052 00010103
	s_and_b32 s82, s82, 0xffffff                               // 0000000062B4: 8652FF52 00FFFFFF
	s_cmp_lt_u32 s82, s66                                      // 0000000062BC: BF0A4252
	s_cselect_b32 s20, s36, s60                                // 0000000062C0: 85143C24
	v_readlane_b32 s82, v3, 1                                  // 0000000062C4: D2890052 00010303
	s_and_b32 s82, s82, 0xffffff                               // 0000000062CC: 8652FF52 00FFFFFF
	s_cmp_lt_u32 s82, s66                                      // 0000000062D4: BF0A4252
	s_cselect_b32 s21, s36, s60                                // 0000000062D8: 85153C24
	s_mov_b64 exec, s[20:21]                                   // 0000000062DC: BEFE0114
	global_atomic_add_f32 v6, v46, s[8:9] offset:8             // 0000000062E0: DD348008 00082E06
	global_atomic_add_f32 v6, v50, s[8:9] offset:264           // 0000000062E8: DD348108 00083206
	s_mov_b64 exec, s[36:37]                                   // 0000000062F0: BEFE0124
	v_mov_b32_e32 v6, v37                                      // 0000000062F4: 7E0C0325
	s_mov_b64 s[60:61], 0                                      // 0000000062F8: BEBC0180
	v_readlane_b32 s82, v3, 2                                  // 0000000062FC: D2890052 00010503
	s_and_b32 s82, s82, 0xffffff                               // 000000006304: 8652FF52 00FFFFFF
	s_cmp_lt_u32 s82, s66                                      // 00000000630C: BF0A4252
	s_cselect_b32 s20, s36, s60                                // 000000006310: 85143C24
	v_readlane_b32 s82, v3, 3                                  // 000000006314: D2890052 00010703
	s_and_b32 s82, s82, 0xffffff                               // 00000000631C: 8652FF52 00FFFFFF
	s_cmp_lt_u32 s82, s66                                      // 000000006324: BF0A4252
	s_cselect_b32 s21, s36, s60                                // 000000006328: 85153C24
	s_mov_b64 exec, s[20:21]                                   // 00000000632C: BEFE0114
	global_atomic_add_f32 v6, v47, s[8:9] offset:8             // 000000006330: DD348008 00082F06
	global_atomic_add_f32 v6, v51, s[8:9] offset:264           // 000000006338: DD348108 00083306
	s_mov_b64 exec, s[36:37]                                   // 000000006340: BEFE0124
	v_mov_b32_e32 v6, v38                                      // 000000006344: 7E0C0326
	s_mov_b64 s[60:61], 0                                      // 000000006348: BEBC0180
	v_readlane_b32 s82, v3, 4                                  // 00000000634C: D2890052 00010903
	s_and_b32 s82, s82, 0xffffff                               // 000000006354: 8652FF52 00FFFFFF
	s_cmp_lt_u32 s82, s66                                      // 00000000635C: BF0A4252
	s_cselect_b32 s20, s36, s60                                // 000000006360: 85143C24
	v_readlane_b32 s82, v3, 5                                  // 000000006364: D2890052 00010B03
	s_and_b32 s82, s82, 0xffffff                               // 00000000636C: 8652FF52 00FFFFFF
	s_cmp_lt_u32 s82, s66                                      // 000000006374: BF0A4252
	s_cselect_b32 s21, s36, s60                                // 000000006378: 85153C24
	s_mov_b64 exec, s[20:21]                                   // 00000000637C: BEFE0114
	global_atomic_add_f32 v6, v54, s[8:9] offset:8             // 000000006380: DD348008 00083606
	global_atomic_add_f32 v6, v58, s[8:9] offset:264           // 000000006388: DD348108 00083A06
	s_mov_b64 exec, s[36:37]                                   // 000000006390: BEFE0124
	v_mov_b32_e32 v6, v39                                      // 000000006394: 7E0C0327
	s_mov_b64 s[60:61], 0                                      // 000000006398: BEBC0180
	v_readlane_b32 s82, v3, 6                                  // 00000000639C: D2890052 00010D03
	s_and_b32 s82, s82, 0xffffff                               // 0000000063A4: 8652FF52 00FFFFFF
	s_cmp_lt_u32 s82, s66                                      // 0000000063AC: BF0A4252
	s_cselect_b32 s20, s36, s60                                // 0000000063B0: 85143C24
	v_readlane_b32 s82, v3, 7                                  // 0000000063B4: D2890052 00010F03
	s_and_b32 s82, s82, 0xffffff                               // 0000000063BC: 8652FF52 00FFFFFF
	s_cmp_lt_u32 s82, s66                                      // 0000000063C4: BF0A4252
	s_cselect_b32 s21, s36, s60                                // 0000000063C8: 85153C24
	s_mov_b64 exec, s[20:21]                                   // 0000000063CC: BEFE0114
	global_atomic_add_f32 v6, v55, s[8:9] offset:8             // 0000000063D0: DD348008 00083706
	global_atomic_add_f32 v6, v59, s[8:9] offset:264           // 0000000063D8: DD348108 00083B06
	s_mov_b64 exec, s[36:37]                                   // 0000000063E0: BEFE0124
	ds_write_b64 v20, v[60:61]                                 // 0000000063E4: D89A0000 00003C14
	ds_write_b64 v20, v[64:65] offset:4352                     // 0000000063EC: D89A1100 00004014
	ds_write_b64 v20, v[68:69] offset:2176                     // 0000000063F4: D89A0880 00004414
	ds_write_b64 v20, v[72:73] offset:6528                     // 0000000063FC: D89A1980 00004814
	s_waitcnt lgkmcnt(0)                                       // 000000006404: BF8CC07F
	s_barrier                                                  // 000000006408: BF8A0000
	ds_read_b32 v60, v21                                       // 00000000640C: D86C0000 3C000015
	ds_read_b32 v61, v21 offset:64                             // 000000006414: D86C0040 3D000015
	ds_read_b32 v64, v21 offset:2176                           // 00000000641C: D86C0880 40000015
	ds_read_b32 v65, v21 offset:2240                           // 000000006424: D86C08C0 41000015
	ds_read_b32 v68, v21 offset:4352                           // 00000000642C: D86C1100 44000015
	ds_read_b32 v69, v21 offset:4416                           // 000000006434: D86C1140 45000015
	ds_read_b32 v72, v21 offset:6528                           // 00000000643C: D86C1980 48000015
	ds_read_b32 v73, v21 offset:6592                           // 000000006444: D86C19C0 49000015
	s_mul_i32 s60, s65, 4                                      // 00000000644C: 923C8441
	s_add_u32 s8, s60, s8                                      // 000000006450: 8008083C
	s_addc_u32 s9, 0, s9                                       // 000000006454: 82090980
	s_waitcnt lgkmcnt(0)                                       // 000000006458: BF8CC07F
	v_mov_b32_e32 v7, 0                                        // 00000000645C: 7E0E0280
	s_mov_b64 exec, s[36:37]                                   // 000000006460: BEFE0124
	v_mov_b32_e32 v6, v36                                      // 000000006464: 7E0C0324
	s_mov_b64 s[60:61], 0                                      // 000000006468: BEBC0180
	v_readlane_b32 s82, v3, 0                                  // 00000000646C: D2890052 00010103
	s_and_b32 s82, s82, 0xffffff                               // 000000006474: 8652FF52 00FFFFFF
	s_cmp_lt_u32 s82, s66                                      // 00000000647C: BF0A4252
	s_cselect_b32 s20, s36, s60                                // 000000006480: 85143C24
	v_readlane_b32 s82, v3, 1                                  // 000000006484: D2890052 00010303
	s_and_b32 s82, s82, 0xffffff                               // 00000000648C: 8652FF52 00FFFFFF
	s_cmp_lt_u32 s82, s66                                      // 000000006494: BF0A4252
	s_cselect_b32 s21, s36, s60                                // 000000006498: 85153C24
	s_mov_b64 exec, s[20:21]                                   // 00000000649C: BEFE0114
	global_atomic_add_f32 v6, v60, s[8:9]                      // 0000000064A0: DD348000 00083C06
	global_atomic_add_f32 v6, v64, s[8:9] offset:256           // 0000000064A8: DD348100 00084006
	s_mov_b64 exec, s[36:37]                                   // 0000000064B0: BEFE0124
	v_mov_b32_e32 v6, v37                                      // 0000000064B4: 7E0C0325
	s_mov_b64 s[60:61], 0                                      // 0000000064B8: BEBC0180
	v_readlane_b32 s82, v3, 2                                  // 0000000064BC: D2890052 00010503
	s_and_b32 s82, s82, 0xffffff                               // 0000000064C4: 8652FF52 00FFFFFF
	s_cmp_lt_u32 s82, s66                                      // 0000000064CC: BF0A4252
	s_cselect_b32 s20, s36, s60                                // 0000000064D0: 85143C24
	v_readlane_b32 s82, v3, 3                                  // 0000000064D4: D2890052 00010703
	s_and_b32 s82, s82, 0xffffff                               // 0000000064DC: 8652FF52 00FFFFFF
	s_cmp_lt_u32 s82, s66                                      // 0000000064E4: BF0A4252
	s_cselect_b32 s21, s36, s60                                // 0000000064E8: 85153C24
	s_mov_b64 exec, s[20:21]                                   // 0000000064EC: BEFE0114
	global_atomic_add_f32 v6, v61, s[8:9]                      // 0000000064F0: DD348000 00083D06
	global_atomic_add_f32 v6, v65, s[8:9] offset:256           // 0000000064F8: DD348100 00084106
	s_mov_b64 exec, s[36:37]                                   // 000000006500: BEFE0124
	v_mov_b32_e32 v6, v38                                      // 000000006504: 7E0C0326
	s_mov_b64 s[60:61], 0                                      // 000000006508: BEBC0180
	v_readlane_b32 s82, v3, 4                                  // 00000000650C: D2890052 00010903
	s_and_b32 s82, s82, 0xffffff                               // 000000006514: 8652FF52 00FFFFFF
	s_cmp_lt_u32 s82, s66                                      // 00000000651C: BF0A4252
	s_cselect_b32 s20, s36, s60                                // 000000006520: 85143C24
	v_readlane_b32 s82, v3, 5                                  // 000000006524: D2890052 00010B03
	s_and_b32 s82, s82, 0xffffff                               // 00000000652C: 8652FF52 00FFFFFF
	s_cmp_lt_u32 s82, s66                                      // 000000006534: BF0A4252
	s_cselect_b32 s21, s36, s60                                // 000000006538: 85153C24
	s_mov_b64 exec, s[20:21]                                   // 00000000653C: BEFE0114
	global_atomic_add_f32 v6, v68, s[8:9]                      // 000000006540: DD348000 00084406
	global_atomic_add_f32 v6, v72, s[8:9] offset:256           // 000000006548: DD348100 00084806
	s_mov_b64 exec, s[36:37]                                   // 000000006550: BEFE0124
	v_mov_b32_e32 v6, v39                                      // 000000006554: 7E0C0327
	s_mov_b64 s[60:61], 0                                      // 000000006558: BEBC0180
	v_readlane_b32 s82, v3, 6                                  // 00000000655C: D2890052 00010D03
	s_and_b32 s82, s82, 0xffffff                               // 000000006564: 8652FF52 00FFFFFF
	s_cmp_lt_u32 s82, s66                                      // 00000000656C: BF0A4252
	s_cselect_b32 s20, s36, s60                                // 000000006570: 85143C24
	v_readlane_b32 s82, v3, 7                                  // 000000006574: D2890052 00010F03
	s_and_b32 s82, s82, 0xffffff                               // 00000000657C: 8652FF52 00FFFFFF
	s_cmp_lt_u32 s82, s66                                      // 000000006584: BF0A4252
	s_cselect_b32 s21, s36, s60                                // 000000006588: 85153C24
	s_mov_b64 exec, s[20:21]                                   // 00000000658C: BEFE0114
	global_atomic_add_f32 v6, v69, s[8:9]                      // 000000006590: DD348000 00084506
	global_atomic_add_f32 v6, v73, s[8:9] offset:256           // 000000006598: DD348100 00084906
	s_mov_b64 exec, s[36:37]                                   // 0000000065A0: BEFE0124
	ds_write_b64 v20, v[62:63]                                 // 0000000065A4: D89A0000 00003E14
	ds_write_b64 v20, v[66:67] offset:4352                     // 0000000065AC: D89A1100 00004214
	ds_write_b64 v20, v[70:71] offset:2176                     // 0000000065B4: D89A0880 00004614
	ds_write_b64 v20, v[74:75] offset:6528                     // 0000000065BC: D89A1980 00004A14
	s_waitcnt lgkmcnt(0)                                       // 0000000065C4: BF8CC07F
	s_barrier                                                  // 0000000065C8: BF8A0000
	ds_read_b32 v62, v21                                       // 0000000065CC: D86C0000 3E000015
	ds_read_b32 v63, v21 offset:64                             // 0000000065D4: D86C0040 3F000015
	ds_read_b32 v66, v21 offset:2176                           // 0000000065DC: D86C0880 42000015
	ds_read_b32 v67, v21 offset:2240                           // 0000000065E4: D86C08C0 43000015
	ds_read_b32 v70, v21 offset:4352                           // 0000000065EC: D86C1100 46000015
	ds_read_b32 v71, v21 offset:4416                           // 0000000065F4: D86C1140 47000015
	ds_read_b32 v74, v21 offset:6528                           // 0000000065FC: D86C1980 4A000015
	ds_read_b32 v75, v21 offset:6592                           // 000000006604: D86C19C0 4B000015
	s_waitcnt lgkmcnt(0)                                       // 00000000660C: BF8CC07F
	v_mov_b32_e32 v7, 0                                        // 000000006610: 7E0E0280
	s_mov_b64 exec, s[36:37]                                   // 000000006614: BEFE0124
	v_mov_b32_e32 v6, v36                                      // 000000006618: 7E0C0324
	s_mov_b64 s[60:61], 0                                      // 00000000661C: BEBC0180
	v_readlane_b32 s82, v3, 0                                  // 000000006620: D2890052 00010103
	s_and_b32 s82, s82, 0xffffff                               // 000000006628: 8652FF52 00FFFFFF
	s_cmp_lt_u32 s82, s66                                      // 000000006630: BF0A4252
	s_cselect_b32 s20, s36, s60                                // 000000006634: 85143C24
	v_readlane_b32 s82, v3, 1                                  // 000000006638: D2890052 00010303
	s_and_b32 s82, s82, 0xffffff                               // 000000006640: 8652FF52 00FFFFFF
	s_cmp_lt_u32 s82, s66                                      // 000000006648: BF0A4252
	s_cselect_b32 s21, s36, s60                                // 00000000664C: 85153C24
	s_mov_b64 exec, s[20:21]                                   // 000000006650: BEFE0114
	global_atomic_add_f32 v6, v62, s[8:9] offset:8             // 000000006654: DD348008 00083E06
	global_atomic_add_f32 v6, v66, s[8:9] offset:264           // 00000000665C: DD348108 00084206
	s_mov_b64 exec, s[36:37]                                   // 000000006664: BEFE0124
	v_mov_b32_e32 v6, v37                                      // 000000006668: 7E0C0325
	s_mov_b64 s[60:61], 0                                      // 00000000666C: BEBC0180
	v_readlane_b32 s82, v3, 2                                  // 000000006670: D2890052 00010503
	s_and_b32 s82, s82, 0xffffff                               // 000000006678: 8652FF52 00FFFFFF
	s_cmp_lt_u32 s82, s66                                      // 000000006680: BF0A4252
	s_cselect_b32 s20, s36, s60                                // 000000006684: 85143C24
	v_readlane_b32 s82, v3, 3                                  // 000000006688: D2890052 00010703
	s_and_b32 s82, s82, 0xffffff                               // 000000006690: 8652FF52 00FFFFFF
	s_cmp_lt_u32 s82, s66                                      // 000000006698: BF0A4252
	s_cselect_b32 s21, s36, s60                                // 00000000669C: 85153C24
	s_mov_b64 exec, s[20:21]                                   // 0000000066A0: BEFE0114
	global_atomic_add_f32 v6, v63, s[8:9] offset:8             // 0000000066A4: DD348008 00083F06
	global_atomic_add_f32 v6, v67, s[8:9] offset:264           // 0000000066AC: DD348108 00084306
	s_mov_b64 exec, s[36:37]                                   // 0000000066B4: BEFE0124
	v_mov_b32_e32 v6, v38                                      // 0000000066B8: 7E0C0326
	s_mov_b64 s[60:61], 0                                      // 0000000066BC: BEBC0180
	v_readlane_b32 s82, v3, 4                                  // 0000000066C0: D2890052 00010903
	s_and_b32 s82, s82, 0xffffff                               // 0000000066C8: 8652FF52 00FFFFFF
	s_cmp_lt_u32 s82, s66                                      // 0000000066D0: BF0A4252
	s_cselect_b32 s20, s36, s60                                // 0000000066D4: 85143C24
	v_readlane_b32 s82, v3, 5                                  // 0000000066D8: D2890052 00010B03
	s_and_b32 s82, s82, 0xffffff                               // 0000000066E0: 8652FF52 00FFFFFF
	s_cmp_lt_u32 s82, s66                                      // 0000000066E8: BF0A4252
	s_cselect_b32 s21, s36, s60                                // 0000000066EC: 85153C24
	s_mov_b64 exec, s[20:21]                                   // 0000000066F0: BEFE0114
	global_atomic_add_f32 v6, v70, s[8:9] offset:8             // 0000000066F4: DD348008 00084606
	global_atomic_add_f32 v6, v74, s[8:9] offset:264           // 0000000066FC: DD348108 00084A06
	s_mov_b64 exec, s[36:37]                                   // 000000006704: BEFE0124
	v_mov_b32_e32 v6, v39                                      // 000000006708: 7E0C0327
	s_mov_b64 s[60:61], 0                                      // 00000000670C: BEBC0180
	v_readlane_b32 s82, v3, 6                                  // 000000006710: D2890052 00010D03
	s_and_b32 s82, s82, 0xffffff                               // 000000006718: 8652FF52 00FFFFFF
	s_cmp_lt_u32 s82, s66                                      // 000000006720: BF0A4252
	s_cselect_b32 s20, s36, s60                                // 000000006724: 85143C24
	v_readlane_b32 s82, v3, 7                                  // 000000006728: D2890052 00010F03
	s_and_b32 s82, s82, 0xffffff                               // 000000006730: 8652FF52 00FFFFFF
	s_cmp_lt_u32 s82, s66                                      // 000000006738: BF0A4252
	s_cselect_b32 s21, s36, s60                                // 00000000673C: 85153C24
	s_mov_b64 exec, s[20:21]                                   // 000000006740: BEFE0114
	global_atomic_add_f32 v6, v71, s[8:9] offset:8             // 000000006744: DD348008 00084706
	global_atomic_add_f32 v6, v75, s[8:9] offset:264           // 00000000674C: DD348108 00084B06
	s_mov_b64 exec, s[36:37]                                   // 000000006754: BEFE0124
	s_branch label_0F5A                                        // 000000006758: BF820000

000000000000675c <label_0F5A>:
	s_waitcnt vmcnt(0) expcnt(0) lgkmcnt(0)                    // 00000000675C: BF8C0000
	s_endpgm                                                   // 000000006760: BF810000
